;; amdgpu-corpus repo=pytorch/pytorch kind=compiled arch=gfx1250 opt=O3
	.amdgcn_target "amdgcn-amd-amdhsa--gfx1250"
	.amdhsa_code_object_version 6
	.section	.text._ZN2at6native12_GLOBAL__N_115adaptivemaxpoolIdEEvPKT_PS3_Pliiiiiilllll,"axG",@progbits,_ZN2at6native12_GLOBAL__N_115adaptivemaxpoolIdEEvPKT_PS3_Pliiiiiilllll,comdat
	.globl	_ZN2at6native12_GLOBAL__N_115adaptivemaxpoolIdEEvPKT_PS3_Pliiiiiilllll ; -- Begin function _ZN2at6native12_GLOBAL__N_115adaptivemaxpoolIdEEvPKT_PS3_Pliiiiiilllll
	.p2align	8
	.type	_ZN2at6native12_GLOBAL__N_115adaptivemaxpoolIdEEvPKT_PS3_Pliiiiiilllll,@function
_ZN2at6native12_GLOBAL__N_115adaptivemaxpoolIdEEvPKT_PS3_Pliiiiiilllll: ; @_ZN2at6native12_GLOBAL__N_115adaptivemaxpoolIdEEvPKT_PS3_Pliiiiiilllll
; %bb.0:
	s_clause 0x2
	s_load_b64 s[2:3], s[0:1], 0x50
	s_load_b128 s[4:7], s[0:1], 0x18
	s_load_b64 s[8:9], s[0:1], 0x28
	s_bfe_u32 s10, ttmp6, 0x4000c
	s_and_b32 s11, ttmp6, 15
	s_add_co_i32 s10, s10, 1
	s_getreg_b32 s19, hwreg(HW_REG_IB_STS2, 6, 4)
	s_mul_i32 s10, ttmp9, s10
	s_mov_b32 s13, 0
	s_add_co_i32 s11, s11, s10
	s_cmp_eq_u32 s19, 0
	s_cselect_b32 s12, ttmp9, s11
	s_wait_kmcnt 0x0
	s_add_nc_u64 s[2:3], s[2:3], s[12:13]
	s_ashr_i32 s11, s7, 31
	s_mov_b32 s10, s7
	s_delay_alu instid0(SALU_CYCLE_1) | instskip(NEXT) | instid1(SALU_CYCLE_1)
	s_or_b64 s[14:15], s[2:3], s[10:11]
	s_and_b64 s[14:15], s[14:15], 0xffffffff00000000
	s_delay_alu instid0(SALU_CYCLE_1)
	s_cmp_lg_u64 s[14:15], 0
	s_cbranch_scc0 .LBB0_52
; %bb.1:
	s_ashr_i32 s14, s11, 31
	s_delay_alu instid0(SALU_CYCLE_1) | instskip(NEXT) | instid1(SALU_CYCLE_1)
	s_mov_b32 s15, s14
	s_add_nc_u64 s[16:17], s[10:11], s[14:15]
	s_delay_alu instid0(SALU_CYCLE_1) | instskip(NEXT) | instid1(SALU_CYCLE_1)
	s_xor_b64 s[16:17], s[16:17], s[14:15]
	s_cvt_f32_u32 s7, s16
	s_cvt_f32_u32 s12, s17
	s_sub_nc_u64 s[22:23], 0, s[16:17]
	s_delay_alu instid0(SALU_CYCLE_2) | instskip(NEXT) | instid1(SALU_CYCLE_3)
	s_fmamk_f32 s7, s12, 0x4f800000, s7
	v_s_rcp_f32 s7, s7
	s_delay_alu instid0(TRANS32_DEP_1) | instskip(NEXT) | instid1(SALU_CYCLE_3)
	s_mul_f32 s7, s7, 0x5f7ffffc
	s_mul_f32 s12, s7, 0x2f800000
	s_delay_alu instid0(SALU_CYCLE_3) | instskip(NEXT) | instid1(SALU_CYCLE_3)
	s_trunc_f32 s12, s12
	s_fmamk_f32 s7, s12, 0xcf800000, s7
	s_cvt_u32_f32 s21, s12
	s_delay_alu instid0(SALU_CYCLE_2) | instskip(NEXT) | instid1(SALU_CYCLE_3)
	s_cvt_u32_f32 s20, s7
	s_mul_u64 s[24:25], s[22:23], s[20:21]
	s_delay_alu instid0(SALU_CYCLE_1)
	s_mul_hi_u32 s27, s20, s25
	s_mul_i32 s26, s20, s25
	s_mul_hi_u32 s12, s20, s24
	s_mul_i32 s18, s21, s24
	s_add_nc_u64 s[26:27], s[12:13], s[26:27]
	s_mul_hi_u32 s7, s21, s24
	s_mul_hi_u32 s28, s21, s25
	s_add_co_u32 s12, s26, s18
	s_add_co_ci_u32 s12, s27, s7
	s_mul_i32 s24, s21, s25
	s_add_co_ci_u32 s25, s28, 0
	s_delay_alu instid0(SALU_CYCLE_1) | instskip(NEXT) | instid1(SALU_CYCLE_1)
	s_add_nc_u64 s[24:25], s[12:13], s[24:25]
	s_add_co_u32 s20, s20, s24
	s_cselect_b32 s7, -1, 0
	s_delay_alu instid0(SALU_CYCLE_1) | instskip(SKIP_1) | instid1(SALU_CYCLE_1)
	s_cmp_lg_u32 s7, 0
	s_add_co_ci_u32 s21, s21, s25
	s_mul_u64 s[22:23], s[22:23], s[20:21]
	s_delay_alu instid0(SALU_CYCLE_1)
	s_mul_hi_u32 s25, s20, s23
	s_mul_i32 s24, s20, s23
	s_mul_hi_u32 s12, s20, s22
	s_mul_i32 s18, s21, s22
	s_add_nc_u64 s[24:25], s[12:13], s[24:25]
	s_mul_hi_u32 s7, s21, s22
	s_mul_hi_u32 s26, s21, s23
	s_add_co_u32 s12, s24, s18
	s_add_co_ci_u32 s12, s25, s7
	s_mul_i32 s22, s21, s23
	s_add_co_ci_u32 s23, s26, 0
	s_delay_alu instid0(SALU_CYCLE_1) | instskip(NEXT) | instid1(SALU_CYCLE_1)
	s_add_nc_u64 s[22:23], s[12:13], s[22:23]
	s_add_co_u32 s7, s20, s22
	s_cselect_b32 s12, -1, 0
	s_delay_alu instid0(SALU_CYCLE_1) | instskip(SKIP_2) | instid1(SALU_CYCLE_1)
	s_cmp_lg_u32 s12, 0
	s_add_co_ci_u32 s18, s21, s23
	s_ashr_i32 s20, s3, 31
	s_mov_b32 s21, s20
	s_delay_alu instid0(SALU_CYCLE_1) | instskip(NEXT) | instid1(SALU_CYCLE_1)
	s_add_nc_u64 s[22:23], s[2:3], s[20:21]
	s_xor_b64 s[22:23], s[22:23], s[20:21]
	s_delay_alu instid0(SALU_CYCLE_1)
	s_mul_hi_u32 s25, s22, s18
	s_mul_i32 s24, s22, s18
	s_mul_hi_u32 s12, s22, s7
	s_mul_hi_u32 s28, s23, s7
	s_mul_i32 s7, s23, s7
	s_add_nc_u64 s[24:25], s[12:13], s[24:25]
	s_mul_hi_u32 s27, s23, s18
	s_add_co_u32 s7, s24, s7
	s_add_co_ci_u32 s12, s25, s28
	s_mul_i32 s26, s23, s18
	s_add_co_ci_u32 s27, s27, 0
	s_delay_alu instid0(SALU_CYCLE_1) | instskip(NEXT) | instid1(SALU_CYCLE_1)
	s_add_nc_u64 s[24:25], s[12:13], s[26:27]
	s_and_b64 s[26:27], s[24:25], 0xffffffff00000000
	s_delay_alu instid0(SALU_CYCLE_1) | instskip(NEXT) | instid1(SALU_CYCLE_1)
	s_or_b32 s26, s26, s24
	s_mul_u64 s[24:25], s[16:17], s[26:27]
	s_add_nc_u64 s[28:29], s[26:27], 1
	s_sub_co_u32 s7, s22, s24
	s_cselect_b32 s12, -1, 0
	s_sub_co_i32 s18, s23, s25
	s_cmp_lg_u32 s12, 0
	s_add_nc_u64 s[30:31], s[26:27], 2
	s_sub_co_ci_u32 s18, s18, s17
	s_sub_co_u32 s22, s7, s16
	s_cselect_b32 s24, -1, 0
	s_delay_alu instid0(SALU_CYCLE_1) | instskip(SKIP_1) | instid1(SALU_CYCLE_1)
	s_cmp_lg_u32 s24, 0
	s_sub_co_ci_u32 s18, s18, 0
	s_cmp_ge_u32 s18, s17
	s_cselect_b32 s24, -1, 0
	s_cmp_ge_u32 s22, s16
	s_cselect_b32 s22, -1, 0
	s_cmp_eq_u32 s18, s17
	s_cselect_b32 s18, s22, s24
	s_delay_alu instid0(SALU_CYCLE_1) | instskip(SKIP_4) | instid1(SALU_CYCLE_1)
	s_cmp_lg_u32 s18, 0
	s_cselect_b32 s18, s30, s28
	s_cselect_b32 s22, s31, s29
	s_cmp_lg_u32 s12, 0
	s_sub_co_ci_u32 s12, s23, s25
	s_cmp_ge_u32 s12, s17
	s_cselect_b32 s23, -1, 0
	s_cmp_ge_u32 s7, s16
	s_cselect_b32 s7, -1, 0
	s_cmp_eq_u32 s12, s17
	s_cselect_b32 s7, s7, s23
	s_delay_alu instid0(SALU_CYCLE_1) | instskip(SKIP_3) | instid1(SALU_CYCLE_1)
	s_cmp_lg_u32 s7, 0
	s_cselect_b32 s17, s22, s27
	s_cselect_b32 s16, s18, s26
	s_xor_b64 s[14:15], s[20:21], s[14:15]
	s_xor_b64 s[16:17], s[16:17], s[14:15]
	s_delay_alu instid0(SALU_CYCLE_1)
	s_sub_nc_u64 s[16:17], s[16:17], s[14:15]
	s_and_not1_b32 vcc_lo, exec_lo, s13
	s_cbranch_vccnz .LBB0_3
.LBB0_2:
	v_cvt_f32_u32_e32 v1, s10
	s_sub_co_i32 s12, 0, s10
	s_mov_b32 s17, 0
	s_delay_alu instid0(VALU_DEP_1) | instskip(SKIP_1) | instid1(TRANS32_DEP_1)
	v_rcp_iflag_f32_e32 v1, v1
	v_nop
	v_mul_f32_e32 v1, 0x4f7ffffe, v1
	s_delay_alu instid0(VALU_DEP_1) | instskip(NEXT) | instid1(VALU_DEP_1)
	v_cvt_u32_f32_e32 v1, v1
	v_readfirstlane_b32 s7, v1
	s_mul_i32 s12, s12, s7
	s_delay_alu instid0(SALU_CYCLE_1) | instskip(NEXT) | instid1(SALU_CYCLE_1)
	s_mul_hi_u32 s12, s7, s12
	s_add_co_i32 s7, s7, s12
	s_delay_alu instid0(SALU_CYCLE_1) | instskip(NEXT) | instid1(SALU_CYCLE_1)
	s_mul_hi_u32 s7, s2, s7
	s_mul_i32 s12, s7, s10
	s_add_co_i32 s13, s7, 1
	s_sub_co_i32 s12, s2, s12
	s_delay_alu instid0(SALU_CYCLE_1)
	s_sub_co_i32 s14, s12, s10
	s_cmp_ge_u32 s12, s10
	s_cselect_b32 s7, s13, s7
	s_cselect_b32 s12, s14, s12
	s_add_co_i32 s13, s7, 1
	s_cmp_ge_u32 s12, s10
	s_cselect_b32 s16, s13, s7
.LBB0_3:
	s_abs_i32 s7, s10
	s_mov_b32 s25, 0
	s_cvt_f32_u32 s12, s7
	s_sub_co_i32 s15, 0, s7
	s_delay_alu instid0(SALU_CYCLE_2) | instskip(SKIP_1) | instid1(TRANS32_DEP_1)
	v_rcp_iflag_f32_e32 v1, s12
	v_nop
	v_readfirstlane_b32 s12, v1
	s_mul_f32 s12, s12, 0x4f7ffffe
	s_delay_alu instid0(SALU_CYCLE_3) | instskip(SKIP_1) | instid1(SALU_CYCLE_1)
	s_cvt_u32_f32 s14, s12
	s_mul_u64 s[12:13], s[16:17], s[10:11]
	s_sub_nc_u64 s[12:13], s[2:3], s[12:13]
	s_delay_alu instid0(SALU_CYCLE_1)
	s_mul_i32 s15, s15, s14
	s_abs_i32 s18, s12
	s_mul_hi_u32 s15, s14, s15
	s_xor_b32 s20, s12, s10
	s_add_co_i32 s14, s14, s15
	s_ashr_i32 s15, s4, 31
	s_mul_hi_u32 s14, s18, s14
	s_ashr_i32 s20, s20, 31
	s_mul_i32 s21, s14, s7
	s_delay_alu instid0(SALU_CYCLE_1)
	s_sub_co_i32 s18, s18, s21
	s_add_co_i32 s21, s14, 1
	s_sub_co_i32 s22, s18, s7
	s_cmp_ge_u32 s18, s7
	s_cselect_b32 s14, s21, s14
	s_cselect_b32 s18, s22, s18
	s_add_co_i32 s21, s14, 1
	s_cmp_ge_u32 s18, s7
	s_cselect_b32 s7, s21, s14
	s_mov_b32 s14, s4
	s_xor_b32 s7, s7, s20
	s_delay_alu instid0(SALU_CYCLE_1) | instskip(NEXT) | instid1(SALU_CYCLE_1)
	s_sub_co_i32 s18, s7, s20
	s_mul_i32 s7, s18, s10
	s_delay_alu instid0(SALU_CYCLE_1) | instskip(NEXT) | instid1(SALU_CYCLE_1)
	s_sub_co_i32 s20, s12, s7
	s_ashr_i32 s21, s20, 31
	s_delay_alu instid0(SALU_CYCLE_1) | instskip(NEXT) | instid1(SALU_CYCLE_1)
	s_mul_u64 s[22:23], s[20:21], s[14:15]
	s_or_b64 s[20:21], s[22:23], s[10:11]
	s_delay_alu instid0(SALU_CYCLE_1) | instskip(NEXT) | instid1(SALU_CYCLE_1)
	s_and_b64 s[20:21], s[20:21], 0xffffffff00000000
	s_cmp_lg_u64 s[20:21], 0
	s_cbranch_scc0 .LBB0_53
; %bb.4:
	s_ashr_i32 s20, s11, 31
	s_delay_alu instid0(SALU_CYCLE_1) | instskip(NEXT) | instid1(SALU_CYCLE_1)
	s_mov_b32 s21, s20
	s_add_nc_u64 s[26:27], s[10:11], s[20:21]
	s_delay_alu instid0(SALU_CYCLE_1) | instskip(NEXT) | instid1(SALU_CYCLE_1)
	s_xor_b64 s[26:27], s[26:27], s[20:21]
	s_cvt_f32_u32 s7, s26
	s_cvt_f32_u32 s24, s27
	s_sub_nc_u64 s[30:31], 0, s[26:27]
	s_delay_alu instid0(SALU_CYCLE_2) | instskip(NEXT) | instid1(SALU_CYCLE_3)
	s_fmamk_f32 s7, s24, 0x4f800000, s7
	v_s_rcp_f32 s7, s7
	s_delay_alu instid0(TRANS32_DEP_1) | instskip(NEXT) | instid1(SALU_CYCLE_3)
	s_mul_f32 s7, s7, 0x5f7ffffc
	s_mul_f32 s24, s7, 0x2f800000
	s_delay_alu instid0(SALU_CYCLE_3) | instskip(NEXT) | instid1(SALU_CYCLE_3)
	s_trunc_f32 s24, s24
	s_fmamk_f32 s7, s24, 0xcf800000, s7
	s_cvt_u32_f32 s29, s24
	s_delay_alu instid0(SALU_CYCLE_2) | instskip(NEXT) | instid1(SALU_CYCLE_3)
	s_cvt_u32_f32 s28, s7
	s_mul_u64 s[34:35], s[30:31], s[28:29]
	s_delay_alu instid0(SALU_CYCLE_1)
	s_mul_hi_u32 s37, s28, s35
	s_mul_i32 s36, s28, s35
	s_mul_hi_u32 s24, s28, s34
	s_mul_i32 s33, s29, s34
	s_add_nc_u64 s[36:37], s[24:25], s[36:37]
	s_mul_hi_u32 s7, s29, s34
	s_mul_hi_u32 s38, s29, s35
	s_add_co_u32 s24, s36, s33
	s_add_co_ci_u32 s24, s37, s7
	s_mul_i32 s34, s29, s35
	s_add_co_ci_u32 s35, s38, 0
	s_delay_alu instid0(SALU_CYCLE_1) | instskip(NEXT) | instid1(SALU_CYCLE_1)
	s_add_nc_u64 s[34:35], s[24:25], s[34:35]
	s_add_co_u32 s28, s28, s34
	s_cselect_b32 s7, -1, 0
	s_delay_alu instid0(SALU_CYCLE_1) | instskip(SKIP_1) | instid1(SALU_CYCLE_1)
	s_cmp_lg_u32 s7, 0
	s_add_co_ci_u32 s29, s29, s35
	s_mul_u64 s[30:31], s[30:31], s[28:29]
	s_delay_alu instid0(SALU_CYCLE_1)
	s_mul_hi_u32 s35, s28, s31
	s_mul_i32 s34, s28, s31
	s_mul_hi_u32 s24, s28, s30
	s_mul_i32 s33, s29, s30
	s_add_nc_u64 s[34:35], s[24:25], s[34:35]
	s_mul_hi_u32 s7, s29, s30
	s_mul_hi_u32 s36, s29, s31
	s_add_co_u32 s24, s34, s33
	s_add_co_ci_u32 s24, s35, s7
	s_mul_i32 s30, s29, s31
	s_add_co_ci_u32 s31, s36, 0
	s_delay_alu instid0(SALU_CYCLE_1) | instskip(NEXT) | instid1(SALU_CYCLE_1)
	s_add_nc_u64 s[30:31], s[24:25], s[30:31]
	s_add_co_u32 s7, s28, s30
	s_cselect_b32 s24, -1, 0
	s_delay_alu instid0(SALU_CYCLE_1) | instskip(SKIP_2) | instid1(SALU_CYCLE_1)
	s_cmp_lg_u32 s24, 0
	s_add_co_ci_u32 s33, s29, s31
	s_ashr_i32 s28, s23, 31
	s_mov_b32 s29, s28
	s_delay_alu instid0(SALU_CYCLE_1) | instskip(NEXT) | instid1(SALU_CYCLE_1)
	s_add_nc_u64 s[30:31], s[22:23], s[28:29]
	s_xor_b64 s[30:31], s[30:31], s[28:29]
	s_delay_alu instid0(SALU_CYCLE_1)
	s_mul_hi_u32 s35, s30, s33
	s_mul_i32 s34, s30, s33
	s_mul_hi_u32 s24, s30, s7
	s_mul_hi_u32 s37, s31, s7
	s_mul_i32 s7, s31, s7
	s_add_nc_u64 s[34:35], s[24:25], s[34:35]
	s_mul_hi_u32 s23, s31, s33
	s_add_co_u32 s7, s34, s7
	s_add_co_ci_u32 s24, s35, s37
	s_mul_i32 s36, s31, s33
	s_add_co_ci_u32 s37, s23, 0
	s_delay_alu instid0(SALU_CYCLE_1) | instskip(NEXT) | instid1(SALU_CYCLE_1)
	s_add_nc_u64 s[34:35], s[24:25], s[36:37]
	s_and_b64 s[36:37], s[34:35], 0xffffffff00000000
	s_delay_alu instid0(SALU_CYCLE_1) | instskip(NEXT) | instid1(SALU_CYCLE_1)
	s_or_b32 s36, s36, s34
	s_mul_u64 s[34:35], s[26:27], s[36:37]
	s_add_nc_u64 s[38:39], s[36:37], 1
	s_sub_co_u32 s7, s30, s34
	s_cselect_b32 s23, -1, 0
	s_sub_co_i32 s24, s31, s35
	s_cmp_lg_u32 s23, 0
	s_add_nc_u64 s[40:41], s[36:37], 2
	s_sub_co_ci_u32 s24, s24, s27
	s_sub_co_u32 s30, s7, s26
	s_cselect_b32 s33, -1, 0
	s_delay_alu instid0(SALU_CYCLE_1) | instskip(SKIP_1) | instid1(SALU_CYCLE_1)
	s_cmp_lg_u32 s33, 0
	s_sub_co_ci_u32 s24, s24, 0
	s_cmp_ge_u32 s24, s27
	s_cselect_b32 s33, -1, 0
	s_cmp_ge_u32 s30, s26
	s_cselect_b32 s30, -1, 0
	s_cmp_eq_u32 s24, s27
	s_cselect_b32 s24, s30, s33
	s_delay_alu instid0(SALU_CYCLE_1) | instskip(SKIP_4) | instid1(SALU_CYCLE_1)
	s_cmp_lg_u32 s24, 0
	s_cselect_b32 s24, s40, s38
	s_cselect_b32 s30, s41, s39
	s_cmp_lg_u32 s23, 0
	s_sub_co_ci_u32 s23, s31, s35
	s_cmp_ge_u32 s23, s27
	s_cselect_b32 s31, -1, 0
	s_cmp_ge_u32 s7, s26
	s_cselect_b32 s7, -1, 0
	s_cmp_eq_u32 s23, s27
	s_cselect_b32 s7, s7, s31
	s_delay_alu instid0(SALU_CYCLE_1) | instskip(SKIP_3) | instid1(SALU_CYCLE_1)
	s_cmp_lg_u32 s7, 0
	s_cselect_b32 s27, s30, s37
	s_cselect_b32 s26, s24, s36
	s_xor_b64 s[20:21], s[28:29], s[20:21]
	s_xor_b64 s[26:27], s[26:27], s[20:21]
	s_delay_alu instid0(SALU_CYCLE_1)
	s_sub_nc_u64 s[20:21], s[26:27], s[20:21]
	s_and_not1_b32 vcc_lo, exec_lo, s25
	s_cbranch_vccnz .LBB0_6
.LBB0_5:
	v_cvt_f32_u32_e32 v1, s10
	s_sub_co_i32 s20, 0, s10
	s_delay_alu instid0(VALU_DEP_1) | instskip(SKIP_1) | instid1(TRANS32_DEP_1)
	v_rcp_iflag_f32_e32 v1, v1
	v_nop
	v_mul_f32_e32 v1, 0x4f7ffffe, v1
	s_delay_alu instid0(VALU_DEP_1) | instskip(NEXT) | instid1(VALU_DEP_1)
	v_cvt_u32_f32_e32 v1, v1
	v_readfirstlane_b32 s7, v1
	s_mul_i32 s20, s20, s7
	s_delay_alu instid0(SALU_CYCLE_1) | instskip(NEXT) | instid1(SALU_CYCLE_1)
	s_mul_hi_u32 s20, s7, s20
	s_add_co_i32 s7, s7, s20
	s_delay_alu instid0(SALU_CYCLE_1) | instskip(NEXT) | instid1(SALU_CYCLE_1)
	s_mul_hi_u32 s7, s22, s7
	s_mul_i32 s20, s7, s10
	s_add_co_i32 s21, s7, 1
	s_sub_co_i32 s20, s22, s20
	s_delay_alu instid0(SALU_CYCLE_1)
	s_sub_co_i32 s22, s20, s10
	s_cmp_ge_u32 s20, s10
	s_cselect_b32 s7, s21, s7
	s_cselect_b32 s20, s22, s20
	s_add_co_i32 s22, s7, 1
	s_cmp_ge_u32 s20, s10
	s_mov_b32 s21, 0
	s_cselect_b32 s20, s22, s7
.LBB0_6:
	s_add_nc_u64 s[12:13], s[12:13], 1
	s_delay_alu instid0(SALU_CYCLE_1) | instskip(NEXT) | instid1(SALU_CYCLE_1)
	s_mul_u64 s[12:13], s[12:13], s[14:15]
	s_add_nc_u64 s[12:13], s[12:13], -1
	s_delay_alu instid0(SALU_CYCLE_1) | instskip(NEXT) | instid1(SALU_CYCLE_1)
	s_or_b64 s[22:23], s[12:13], s[10:11]
	s_and_b64 s[22:23], s[22:23], 0xffffffff00000000
	s_delay_alu instid0(SALU_CYCLE_1)
	s_cmp_lg_u64 s[22:23], 0
	s_cbranch_scc0 .LBB0_54
; %bb.7:
	s_ashr_i32 s22, s11, 31
	s_delay_alu instid0(SALU_CYCLE_1) | instskip(NEXT) | instid1(SALU_CYCLE_1)
	s_mov_b32 s23, s22
	s_add_nc_u64 s[24:25], s[10:11], s[22:23]
	s_delay_alu instid0(SALU_CYCLE_1) | instskip(SKIP_4) | instid1(SALU_CYCLE_2)
	s_xor_b64 s[26:27], s[24:25], s[22:23]
	s_mov_b32 s25, 0
	s_cvt_f32_u32 s7, s26
	s_cvt_f32_u32 s11, s27
	s_sub_nc_u64 s[30:31], 0, s[26:27]
	s_fmamk_f32 s7, s11, 0x4f800000, s7
	s_delay_alu instid0(SALU_CYCLE_3) | instskip(NEXT) | instid1(TRANS32_DEP_1)
	v_s_rcp_f32 s7, s7
	s_mul_f32 s7, s7, 0x5f7ffffc
	s_delay_alu instid0(SALU_CYCLE_3) | instskip(NEXT) | instid1(SALU_CYCLE_3)
	s_mul_f32 s11, s7, 0x2f800000
	s_trunc_f32 s11, s11
	s_delay_alu instid0(SALU_CYCLE_3) | instskip(SKIP_1) | instid1(SALU_CYCLE_2)
	s_fmamk_f32 s7, s11, 0xcf800000, s7
	s_cvt_u32_f32 s29, s11
	s_cvt_u32_f32 s28, s7
	s_delay_alu instid0(SALU_CYCLE_3) | instskip(NEXT) | instid1(SALU_CYCLE_1)
	s_mul_u64 s[34:35], s[30:31], s[28:29]
	s_mul_hi_u32 s37, s28, s35
	s_mul_i32 s36, s28, s35
	s_mul_hi_u32 s24, s28, s34
	s_mul_i32 s11, s29, s34
	s_add_nc_u64 s[36:37], s[24:25], s[36:37]
	s_mul_hi_u32 s7, s29, s34
	s_mul_hi_u32 s33, s29, s35
	s_add_co_u32 s11, s36, s11
	s_add_co_ci_u32 s24, s37, s7
	s_mul_i32 s34, s29, s35
	s_add_co_ci_u32 s35, s33, 0
	s_delay_alu instid0(SALU_CYCLE_1) | instskip(NEXT) | instid1(SALU_CYCLE_1)
	s_add_nc_u64 s[34:35], s[24:25], s[34:35]
	s_add_co_u32 s28, s28, s34
	s_cselect_b32 s7, -1, 0
	s_delay_alu instid0(SALU_CYCLE_1) | instskip(SKIP_1) | instid1(SALU_CYCLE_1)
	s_cmp_lg_u32 s7, 0
	s_add_co_ci_u32 s29, s29, s35
	s_mul_u64 s[30:31], s[30:31], s[28:29]
	s_delay_alu instid0(SALU_CYCLE_1)
	s_mul_hi_u32 s35, s28, s31
	s_mul_i32 s34, s28, s31
	s_mul_hi_u32 s24, s28, s30
	s_mul_i32 s11, s29, s30
	s_add_nc_u64 s[34:35], s[24:25], s[34:35]
	s_mul_hi_u32 s7, s29, s30
	s_mul_hi_u32 s33, s29, s31
	s_add_co_u32 s11, s34, s11
	s_add_co_ci_u32 s24, s35, s7
	s_mul_i32 s30, s29, s31
	s_add_co_ci_u32 s31, s33, 0
	s_delay_alu instid0(SALU_CYCLE_1) | instskip(NEXT) | instid1(SALU_CYCLE_1)
	s_add_nc_u64 s[30:31], s[24:25], s[30:31]
	s_add_co_u32 s7, s28, s30
	s_cselect_b32 s11, -1, 0
	s_delay_alu instid0(SALU_CYCLE_1) | instskip(SKIP_2) | instid1(SALU_CYCLE_1)
	s_cmp_lg_u32 s11, 0
	s_add_co_ci_u32 s11, s29, s31
	s_ashr_i32 s28, s13, 31
	s_mov_b32 s29, s28
	s_delay_alu instid0(SALU_CYCLE_1) | instskip(NEXT) | instid1(SALU_CYCLE_1)
	s_add_nc_u64 s[30:31], s[12:13], s[28:29]
	s_xor_b64 s[30:31], s[30:31], s[28:29]
	s_delay_alu instid0(SALU_CYCLE_1)
	s_mul_hi_u32 s35, s30, s11
	s_mul_i32 s34, s30, s11
	s_mul_hi_u32 s24, s30, s7
	s_mul_hi_u32 s33, s31, s7
	s_mul_i32 s7, s31, s7
	s_add_nc_u64 s[34:35], s[24:25], s[34:35]
	s_mul_hi_u32 s13, s31, s11
	s_add_co_u32 s7, s34, s7
	s_add_co_ci_u32 s24, s35, s33
	s_mul_i32 s36, s31, s11
	s_add_co_ci_u32 s37, s13, 0
	s_delay_alu instid0(SALU_CYCLE_1) | instskip(NEXT) | instid1(SALU_CYCLE_1)
	s_add_nc_u64 s[34:35], s[24:25], s[36:37]
	s_and_b64 s[36:37], s[34:35], 0xffffffff00000000
	s_delay_alu instid0(SALU_CYCLE_1) | instskip(NEXT) | instid1(SALU_CYCLE_1)
	s_or_b32 s36, s36, s34
	s_mul_u64 s[34:35], s[26:27], s[36:37]
	s_add_nc_u64 s[38:39], s[36:37], 1
	s_sub_co_u32 s7, s30, s34
	s_cselect_b32 s11, -1, 0
	s_sub_co_i32 s13, s31, s35
	s_cmp_lg_u32 s11, 0
	s_add_nc_u64 s[40:41], s[36:37], 2
	s_sub_co_ci_u32 s13, s13, s27
	s_sub_co_u32 s24, s7, s26
	s_cselect_b32 s30, -1, 0
	s_delay_alu instid0(SALU_CYCLE_1) | instskip(SKIP_1) | instid1(SALU_CYCLE_1)
	s_cmp_lg_u32 s30, 0
	s_sub_co_ci_u32 s13, s13, 0
	s_cmp_ge_u32 s13, s27
	s_cselect_b32 s30, -1, 0
	s_cmp_ge_u32 s24, s26
	s_cselect_b32 s24, -1, 0
	s_cmp_eq_u32 s13, s27
	s_cselect_b32 s13, s24, s30
	s_delay_alu instid0(SALU_CYCLE_1) | instskip(SKIP_4) | instid1(SALU_CYCLE_1)
	s_cmp_lg_u32 s13, 0
	s_cselect_b32 s13, s40, s38
	s_cselect_b32 s24, s41, s39
	s_cmp_lg_u32 s11, 0
	s_sub_co_ci_u32 s11, s31, s35
	s_cmp_ge_u32 s11, s27
	s_cselect_b32 s30, -1, 0
	s_cmp_ge_u32 s7, s26
	s_cselect_b32 s7, -1, 0
	s_cmp_eq_u32 s11, s27
	s_cselect_b32 s7, s7, s30
	s_delay_alu instid0(SALU_CYCLE_1) | instskip(SKIP_3) | instid1(SALU_CYCLE_1)
	s_cmp_lg_u32 s7, 0
	s_cselect_b32 s27, s24, s37
	s_cselect_b32 s26, s13, s36
	s_xor_b64 s[22:23], s[28:29], s[22:23]
	s_xor_b64 s[26:27], s[26:27], s[22:23]
	s_delay_alu instid0(SALU_CYCLE_1)
	s_sub_nc_u64 s[22:23], s[26:27], s[22:23]
	s_load_b32 s7, s[0:1], 0x64
	s_cbranch_execnz .LBB0_9
.LBB0_8:
	v_cvt_f32_u32_e32 v1, s10
	s_sub_co_i32 s13, 0, s10
	s_delay_alu instid0(VALU_DEP_1) | instskip(SKIP_1) | instid1(TRANS32_DEP_1)
	v_rcp_iflag_f32_e32 v1, v1
	v_nop
	v_mul_f32_e32 v1, 0x4f7ffffe, v1
	s_delay_alu instid0(VALU_DEP_1) | instskip(NEXT) | instid1(VALU_DEP_1)
	v_cvt_u32_f32_e32 v1, v1
	v_readfirstlane_b32 s11, v1
	s_mul_i32 s13, s13, s11
	s_delay_alu instid0(SALU_CYCLE_1) | instskip(NEXT) | instid1(SALU_CYCLE_1)
	s_mul_hi_u32 s13, s11, s13
	s_add_co_i32 s11, s11, s13
	s_delay_alu instid0(SALU_CYCLE_1) | instskip(NEXT) | instid1(SALU_CYCLE_1)
	s_mul_hi_u32 s11, s12, s11
	s_mul_i32 s13, s11, s10
	s_delay_alu instid0(SALU_CYCLE_1)
	s_sub_co_i32 s12, s12, s13
	s_add_co_i32 s13, s11, 1
	s_sub_co_i32 s22, s12, s10
	s_cmp_ge_u32 s12, s10
	s_cselect_b32 s11, s13, s11
	s_cselect_b32 s12, s22, s12
	s_add_co_i32 s13, s11, 1
	s_cmp_ge_u32 s12, s10
	s_cselect_b32 s22, s13, s11
.LBB0_9:
	s_bfe_u32 s10, ttmp6, 0x40010
	s_bfe_u32 s12, ttmp6, 0x40004
	s_add_co_i32 s10, s10, 1
	s_wait_kmcnt 0x0
	s_lshr_b32 s11, s7, 16
	s_mul_i32 s10, ttmp7, s10
	v_bfe_u32 v1, v0, 10, 10
	s_add_co_i32 s12, s12, s10
	s_cmp_eq_u32 s19, 0
	s_cselect_b32 s10, ttmp7, s12
	s_mov_b32 s12, exec_lo
	v_mad_u32 v2, s10, s11, v1
	s_mov_b32 s10, 0
	s_delay_alu instid0(VALU_DEP_1)
	v_cmpx_gt_i32_e64 s8, v2
	s_cbranch_execz .LBB0_51
; %bb.10:
	s_mov_b32 s19, s10
	s_ashr_i32 s13, s8, 31
	s_mul_u64 s[14:15], s[18:19], s[14:15]
	s_mov_b32 s12, s8
	s_add_nc_u64 s[24:25], s[20:21], s[14:15]
	s_ashr_i32 s15, s9, 31
	s_mov_b32 s14, s9
	s_sub_co_i32 s33, s22, s24
	s_mul_u64 s[22:23], s[14:15], s[12:13]
	s_add_co_i32 s33, s33, 1
	s_mul_u64 s[2:3], s[22:23], s[2:3]
	s_bfe_i64 s[26:27], s[16:17], 0x200000
	s_bfe_i64 s[28:29], s[24:25], 0x200000
	s_lshl_b64 s[2:3], s[2:3], 3
	s_and_b32 s40, s7, 0xffff
	s_ashr_i32 s17, s5, 31
	s_ashr_i32 s7, s6, 31
	s_cmp_gt_i32 s33, 0
	v_cvt_f32_u32_e32 v3, s12
	s_cselect_b32 s41, -1, 0
	s_ashr_i32 s42, s8, 31
	v_and_b32_e32 v22, 0x3ff, v0
	s_add_co_i32 s16, s8, s42
	v_rcp_iflag_f32_e32 v3, v3
	s_xor_b32 s43, s16, s42
	s_clause 0x2
	s_load_b32 s46, s[0:1], 0x5c
	s_load_b128 s[36:39], s[0:1], 0x0
	s_load_b64 s[22:23], s[0:1], 0x10
	v_cvt_f32_u32_e32 v1, s43
	s_load_b256 s[48:55], s[0:1], 0x30
	s_wait_xcnt 0x0
	s_sub_co_i32 s0, 0, s43
	s_sub_co_i32 s1, 0, s8
	v_mul_f32_e32 v3, 0x4f7ffffe, v3
	v_rcp_iflag_f32_e32 v1, v1
	s_mul_i32 s45, s4, s18
	s_mov_b32 s16, s5
	s_add_co_i32 s45, s45, s20
	v_cvt_u32_f32_e32 v3, v3
	s_mov_b64 s[18:19], 0xffffffff
	s_mul_i32 s44, s5, s24
	v_mul_f32_e32 v1, 0x4f7ffffe, v1
	s_mul_i32 s47, s6, s5
	v_mul_lo_u32 v5, s1, v3
	s_ashr_i32 s34, s13, 31
	s_delay_alu instid0(VALU_DEP_2)
	v_cvt_u32_f32_e32 v0, v1
	s_wait_kmcnt 0x0
	s_add_nc_u64 s[20:21], s[38:39], s[2:3]
	s_add_nc_u64 s[22:23], s[22:23], s[2:3]
	s_mul_i32 s46, s46, s11
	s_mul_u64 s[2:3], s[50:51], s[28:29]
	v_mul_lo_u32 v4, s0, v0
	s_mul_u64 s[26:27], s[48:49], s[26:27]
	s_lshl_b64 s[2:3], s[2:3], 3
	v_mul_hi_u32 v5, v3, v5
	s_lshl_b64 s[28:29], s[26:27], 3
	v_cmp_gt_i32_e64 s0, s9, v22
	s_add_nc_u64 s[2:3], s[2:3], s[28:29]
	s_lshl_b64 s[24:25], s[52:53], 3
	s_lshl_b64 s[26:27], s[54:55], 3
	;; [unrolled: 1-line block ×3, first 2 shown]
	s_add_nc_u64 s[30:31], s[36:37], s[2:3]
	v_mul_hi_u32 v4, v0, v4
	v_mov_b32_e32 v1, 0
	s_mov_b32 s48, 0
	s_delay_alu instid0(VALU_DEP_2)
	v_dual_add_nc_u32 v24, v3, v5 :: v_dual_add_nc_u32 v23, v0, v4
	s_branch .LBB0_12
.LBB0_11:                               ;   in Loop: Header=BB0_12 Depth=1
	s_or_b32 exec_lo, exec_lo, s35
	v_add_nc_u32_e32 v2, s46, v2
	s_delay_alu instid0(VALU_DEP_1) | instskip(SKIP_1) | instid1(SALU_CYCLE_1)
	v_cmp_le_i32_e32 vcc_lo, s8, v2
	s_or_b32 s48, vcc_lo, s48
	s_and_not1_b32 exec_lo, exec_lo, s48
	s_cbranch_execz .LBB0_51
.LBB0_12:                               ; =>This Loop Header: Depth=1
                                        ;     Child Loop BB0_28 Depth 2
                                        ;       Child Loop BB0_44 Depth 3
                                        ;         Child Loop BB0_47 Depth 4
                                        ;           Child Loop BB0_49 Depth 5
	s_delay_alu instid0(VALU_DEP_2) | instskip(SKIP_1) | instid1(VALU_DEP_1)
	v_dual_mov_b32 v4, v1 :: v_dual_ashrrev_i32 v3, 31, v2
	s_mov_b32 s1, exec_lo
                                        ; implicit-def: $vgpr6_vgpr7
	v_or_b32_e32 v5, s13, v3
	s_delay_alu instid0(VALU_DEP_1)
	v_cmpx_ne_u64_e32 0, v[4:5]
	s_xor_b32 s1, exec_lo, s1
	s_cbranch_execz .LBB0_14
; %bb.13:                               ;   in Loop: Header=BB0_12 Depth=1
	v_ashrrev_i32_e32 v0, 31, v2
	s_delay_alu instid0(VALU_DEP_1) | instskip(NEXT) | instid1(VALU_DEP_1)
	v_add_nc_u32_e32 v4, v2, v0
	v_xor_b32_e32 v4, v4, v0
	s_delay_alu instid0(VALU_DEP_1) | instskip(NEXT) | instid1(VALU_DEP_1)
	v_mul_hi_u32 v5, v4, v23
	v_mul_lo_u32 v6, v5, s43
	s_delay_alu instid0(VALU_DEP_1) | instskip(SKIP_1) | instid1(VALU_DEP_2)
	v_dual_sub_nc_u32 v4, v4, v6 :: v_dual_add_nc_u32 v6, 1, v5
	v_xor_b32_e32 v0, s42, v0
	v_subrev_nc_u32_e32 v7, s43, v4
	v_cmp_le_u32_e32 vcc_lo, s43, v4
	s_delay_alu instid0(VALU_DEP_2) | instskip(NEXT) | instid1(VALU_DEP_1)
	v_dual_cndmask_b32 v4, v4, v7 :: v_dual_cndmask_b32 v5, v5, v6
	v_cmp_le_u32_e32 vcc_lo, s43, v4
	s_delay_alu instid0(VALU_DEP_2) | instskip(NEXT) | instid1(VALU_DEP_1)
	v_add_nc_u32_e32 v6, 1, v5
	v_cndmask_b32_e32 v4, v5, v6, vcc_lo
	s_delay_alu instid0(VALU_DEP_1) | instskip(NEXT) | instid1(VALU_DEP_1)
	v_xor_b32_e32 v4, v4, v0
	v_sub_nc_u32_e32 v6, v4, v0
	s_delay_alu instid0(VALU_DEP_1)
	v_ashrrev_i32_e32 v7, 31, v6
.LBB0_14:                               ;   in Loop: Header=BB0_12 Depth=1
	s_and_not1_saveexec_b32 s1, s1
	s_cbranch_execz .LBB0_16
; %bb.15:                               ;   in Loop: Header=BB0_12 Depth=1
	v_mul_hi_u32 v0, v2, v24
	s_delay_alu instid0(VALU_DEP_1) | instskip(SKIP_1) | instid1(VALU_DEP_2)
	v_mul_lo_u32 v4, v0, s12
	v_add_nc_u32_e32 v5, 1, v0
	v_sub_nc_u32_e32 v4, v2, v4
	s_delay_alu instid0(VALU_DEP_1) | instskip(NEXT) | instid1(VALU_DEP_3)
	v_cmp_le_u32_e32 vcc_lo, s12, v4
	v_cndmask_b32_e32 v0, v0, v5, vcc_lo
	v_subrev_nc_u32_e32 v6, s12, v4
	s_delay_alu instid0(VALU_DEP_1) | instskip(NEXT) | instid1(VALU_DEP_1)
	v_dual_cndmask_b32 v4, v4, v6 :: v_dual_add_nc_u32 v5, 1, v0
	v_cmp_le_u32_e32 vcc_lo, s12, v4
	s_delay_alu instid0(VALU_DEP_2) | instskip(NEXT) | instid1(VALU_DEP_1)
	v_cndmask_b32_e32 v0, v0, v5, vcc_lo
	v_mov_b64_e32 v[6:7], v[0:1]
.LBB0_16:                               ;   in Loop: Header=BB0_12 Depth=1
	s_or_b32 exec_lo, exec_lo, s1
	s_delay_alu instid0(VALU_DEP_1) | instskip(SKIP_1) | instid1(VALU_DEP_2)
	v_mul_u64_e32 v[4:5], s[12:13], v[6:7]
	v_mov_b32_e32 v8, v1
	v_sub_nc_u64_e32 v[4:5], v[2:3], v[4:5]
	s_delay_alu instid0(VALU_DEP_1) | instskip(NEXT) | instid1(VALU_DEP_1)
	v_mul_u64_e32 v[4:5], s[16:17], v[4:5]
	v_or_b32_e32 v9, s13, v5
	s_delay_alu instid0(VALU_DEP_1) | instskip(SKIP_1) | instid1(SALU_CYCLE_1)
	v_cmp_ne_u64_e32 vcc_lo, 0, v[8:9]
                                        ; implicit-def: $vgpr8_vgpr9
	s_and_saveexec_b32 s1, vcc_lo
	s_xor_b32 s4, exec_lo, s1
	s_cbranch_execz .LBB0_18
; %bb.17:                               ;   in Loop: Header=BB0_12 Depth=1
	s_mov_b32 s35, s34
	s_mov_b32 s51, s10
	s_add_nc_u64 s[2:3], s[12:13], s[34:35]
	s_mov_b32 s55, s10
	s_xor_b64 s[2:3], s[2:3], s[34:35]
	v_dual_mov_b32 v13, v1 :: v_dual_ashrrev_i32 v8, 31, v5
	s_cvt_f32_u32 s1, s2
	s_cvt_f32_u32 s11, s3
	s_sub_nc_u64 s[38:39], 0, s[2:3]
	s_delay_alu instid0(VALU_DEP_1) | instskip(NEXT) | instid1(SALU_CYCLE_1)
	v_dual_mov_b32 v9, v8 :: v_dual_mov_b32 v17, v1
	s_fmamk_f32 s1, s11, 0x4f800000, s1
	s_delay_alu instid0(VALU_DEP_1) | instskip(NEXT) | instid1(SALU_CYCLE_2)
	v_add_nc_u64_e32 v[4:5], v[4:5], v[8:9]
	v_s_rcp_f32 s1, s1
	s_delay_alu instid0(VALU_DEP_1) | instskip(NEXT) | instid1(VALU_DEP_2)
	v_xor_b32_e32 v0, v4, v8
	v_xor_b32_e32 v12, v5, v8
	s_delay_alu instid0(TRANS32_DEP_1) | instskip(SKIP_1) | instid1(SALU_CYCLE_2)
	s_mul_f32 s1, s1, 0x5f7ffffc
	v_xor_b32_e32 v8, s34, v8
	s_mul_f32 s11, s1, 0x2f800000
	s_delay_alu instid0(SALU_CYCLE_3) | instskip(NEXT) | instid1(SALU_CYCLE_3)
	s_trunc_f32 s11, s11
	s_fmamk_f32 s1, s11, 0xcf800000, s1
	s_cvt_u32_f32 s37, s11
	s_delay_alu instid0(SALU_CYCLE_2) | instskip(NEXT) | instid1(SALU_CYCLE_3)
	s_cvt_u32_f32 s36, s1
	s_mul_u64 s[52:53], s[38:39], s[36:37]
	s_delay_alu instid0(SALU_CYCLE_1)
	s_mul_hi_u32 s57, s36, s53
	s_mul_i32 s56, s36, s53
	s_mul_hi_u32 s50, s36, s52
	s_mul_i32 s11, s37, s52
	s_add_nc_u64 s[50:51], s[50:51], s[56:57]
	s_mul_hi_u32 s1, s37, s52
	s_mul_hi_u32 s35, s37, s53
	s_add_co_u32 s11, s50, s11
	s_add_co_ci_u32 s54, s51, s1
	s_mul_i32 s52, s37, s53
	s_add_co_ci_u32 s53, s35, 0
	s_delay_alu instid0(SALU_CYCLE_1) | instskip(SKIP_3) | instid1(SALU_CYCLE_1)
	s_add_nc_u64 s[50:51], s[54:55], s[52:53]
	s_mov_b32 s53, s10
	s_add_co_u32 s36, s36, s50
	s_cselect_b32 s1, -1, 0
	s_cmp_lg_u32 s1, 0
	s_add_co_ci_u32 s37, s37, s51
	s_mov_b32 s51, s10
	s_mul_u64 s[38:39], s[38:39], s[36:37]
	s_delay_alu instid0(SALU_CYCLE_1)
	s_mul_hi_u32 s55, s36, s39
	s_mul_i32 s54, s36, s39
	s_mul_hi_u32 s52, s36, s38
	s_mul_i32 s11, s37, s38
	s_add_nc_u64 s[52:53], s[52:53], s[54:55]
	s_mul_hi_u32 s1, s37, s38
	s_mul_hi_u32 s35, s37, s39
	s_add_co_u32 s11, s52, s11
	s_add_co_ci_u32 s50, s53, s1
	s_mul_i32 s38, s37, s39
	s_add_co_ci_u32 s39, s35, 0
	s_delay_alu instid0(SALU_CYCLE_1) | instskip(NEXT) | instid1(SALU_CYCLE_1)
	s_add_nc_u64 s[38:39], s[50:51], s[38:39]
	s_add_co_u32 s36, s36, s38
	s_cselect_b32 s1, -1, 0
	v_mul_hi_u32 v16, v0, s36
	s_cmp_lg_u32 s1, 0
	s_add_co_ci_u32 s50, s37, s39
	s_and_b64 s[38:39], s[36:37], s[18:19]
	v_mul_u64_e32 v[10:11], s[50:51], v[0:1]
	v_mul_u64_e32 v[4:5], s[38:39], v[12:13]
	;; [unrolled: 1-line block ×3, first 2 shown]
	s_delay_alu instid0(VALU_DEP_3) | instskip(NEXT) | instid1(VALU_DEP_1)
	v_add_nc_u64_e32 v[10:11], v[16:17], v[10:11]
	v_add_co_u32 v4, vcc_lo, v10, v4
	s_delay_alu instid0(VALU_DEP_2) | instskip(NEXT) | instid1(VALU_DEP_4)
	v_add_co_ci_u32_e32 v16, vcc_lo, v11, v5, vcc_lo
	v_add_co_ci_u32_e32 v15, vcc_lo, 0, v15, vcc_lo
	s_delay_alu instid0(VALU_DEP_1) | instskip(NEXT) | instid1(VALU_DEP_1)
	v_add_nc_u64_e32 v[4:5], v[16:17], v[14:15]
	v_mul_u64_e32 v[10:11], s[2:3], v[4:5]
	s_delay_alu instid0(VALU_DEP_1) | instskip(NEXT) | instid1(VALU_DEP_2)
	v_sub_nc_u32_e32 v7, v12, v11
	v_sub_co_u32 v0, vcc_lo, v0, v10
	s_delay_alu instid0(VALU_DEP_1) | instskip(NEXT) | instid1(VALU_DEP_3)
	v_sub_co_ci_u32_e64 v14, null, v12, v11, vcc_lo
	v_subrev_co_ci_u32_e64 v7, null, s3, v7, vcc_lo
	s_delay_alu instid0(VALU_DEP_3) | instskip(SKIP_1) | instid1(VALU_DEP_3)
	v_sub_co_u32 v9, s1, v0, s2
	v_add_nc_u64_e32 v[12:13], 1, v[4:5]
	v_subrev_co_ci_u32_e64 v7, null, 0, v7, s1
	s_delay_alu instid0(VALU_DEP_3) | instskip(SKIP_1) | instid1(VALU_DEP_3)
	v_cmp_le_u32_e32 vcc_lo, s2, v9
	v_cndmask_b32_e64 v9, 0, -1, vcc_lo
	v_cmp_le_u32_e32 vcc_lo, s3, v7
	v_cndmask_b32_e64 v10, 0, -1, vcc_lo
	;; [unrolled: 2-line block ×4, first 2 shown]
	v_cmp_eq_u32_e32 vcc_lo, s3, v7
	v_cndmask_b32_e32 v7, v10, v9, vcc_lo
	v_cmp_eq_u32_e32 vcc_lo, s3, v14
	v_add_nc_u64_e32 v[10:11], 2, v[4:5]
	v_cndmask_b32_e32 v0, v15, v0, vcc_lo
	s_delay_alu instid0(VALU_DEP_4) | instskip(NEXT) | instid1(VALU_DEP_2)
	v_cmp_ne_u32_e32 vcc_lo, 0, v7
	v_cmp_ne_u32_e64 s1, 0, v0
	s_delay_alu instid0(VALU_DEP_4) | instskip(NEXT) | instid1(VALU_DEP_1)
	v_dual_cndmask_b32 v7, v13, v11 :: v_dual_cndmask_b32 v0, v12, v10
	v_dual_cndmask_b32 v5, v5, v7, s1 :: v_dual_cndmask_b32 v0, v4, v0, s1
	s_delay_alu instid0(VALU_DEP_1) | instskip(NEXT) | instid1(VALU_DEP_2)
	v_dual_mov_b32 v9, v8 :: v_dual_bitop2_b32 v5, v5, v8 bitop3:0x14
	v_xor_b32_e32 v4, v0, v8
	s_delay_alu instid0(VALU_DEP_1)
	v_sub_nc_u64_e32 v[8:9], v[4:5], v[8:9]
                                        ; implicit-def: $vgpr4_vgpr5
.LBB0_18:                               ;   in Loop: Header=BB0_12 Depth=1
	s_and_not1_saveexec_b32 s1, s4
	s_cbranch_execz .LBB0_20
; %bb.19:                               ;   in Loop: Header=BB0_12 Depth=1
	s_delay_alu instid0(VALU_DEP_3) | instskip(NEXT) | instid1(VALU_DEP_1)
	v_mul_hi_u32 v0, v4, v24
	v_mul_lo_u32 v5, v0, s12
	s_delay_alu instid0(VALU_DEP_1) | instskip(NEXT) | instid1(VALU_DEP_1)
	v_dual_sub_nc_u32 v4, v4, v5 :: v_dual_add_nc_u32 v5, 1, v0
	v_subrev_nc_u32_e32 v7, s12, v4
	v_cmp_le_u32_e32 vcc_lo, s12, v4
	s_delay_alu instid0(VALU_DEP_3) | instskip(NEXT) | instid1(VALU_DEP_1)
	v_cndmask_b32_e32 v0, v0, v5, vcc_lo
	v_dual_cndmask_b32 v4, v4, v7 :: v_dual_add_nc_u32 v5, 1, v0
	s_delay_alu instid0(VALU_DEP_1) | instskip(NEXT) | instid1(VALU_DEP_2)
	v_cmp_le_u32_e32 vcc_lo, s12, v4
	v_cndmask_b32_e32 v0, v0, v5, vcc_lo
	s_delay_alu instid0(VALU_DEP_1)
	v_mov_b64_e32 v[8:9], v[0:1]
.LBB0_20:                               ;   in Loop: Header=BB0_12 Depth=1
	s_or_b32 exec_lo, exec_lo, s1
	v_add_nc_u64_e32 v[10:11], 1, v[2:3]
	s_delay_alu instid0(VALU_DEP_1) | instskip(NEXT) | instid1(VALU_DEP_1)
	v_mad_nc_u64_u32 v[4:5], v10, s16, -1
	v_mad_u32 v0, v11, s16, v5
	s_delay_alu instid0(VALU_DEP_1) | instskip(NEXT) | instid1(VALU_DEP_1)
	v_mad_u32 v5, v10, s17, v0
	v_dual_mov_b32 v10, v1 :: v_dual_bitop2_b32 v11, s13, v5 bitop3:0x54
	s_delay_alu instid0(VALU_DEP_1) | instskip(SKIP_1) | instid1(SALU_CYCLE_1)
	v_cmp_ne_u64_e32 vcc_lo, 0, v[10:11]
                                        ; implicit-def: $vgpr10_vgpr11
	s_and_saveexec_b32 s1, vcc_lo
	s_xor_b32 s4, exec_lo, s1
	s_cbranch_execnz .LBB0_23
; %bb.21:                               ;   in Loop: Header=BB0_12 Depth=1
	s_and_not1_saveexec_b32 s1, s4
	s_cbranch_execnz .LBB0_24
.LBB0_22:                               ;   in Loop: Header=BB0_12 Depth=1
	s_or_b32 exec_lo, exec_lo, s1
	s_and_saveexec_b32 s35, s0
	s_cbranch_execz .LBB0_11
	s_branch .LBB0_25
.LBB0_23:                               ;   in Loop: Header=BB0_12 Depth=1
	s_mov_b32 s35, s34
	s_mov_b32 s51, s10
	s_add_nc_u64 s[2:3], s[12:13], s[34:35]
	s_mov_b32 s55, s10
	s_xor_b64 s[2:3], s[2:3], s[34:35]
	v_dual_mov_b32 v15, v1 :: v_dual_ashrrev_i32 v10, 31, v5
	s_cvt_f32_u32 s1, s2
	s_cvt_f32_u32 s11, s3
	s_sub_nc_u64 s[38:39], 0, s[2:3]
	s_delay_alu instid0(VALU_DEP_1) | instskip(NEXT) | instid1(SALU_CYCLE_1)
	v_mov_b32_e32 v11, v10
	s_fmamk_f32 s1, s11, 0x4f800000, s1
	s_delay_alu instid0(VALU_DEP_1) | instskip(NEXT) | instid1(SALU_CYCLE_2)
	v_add_nc_u64_e32 v[4:5], v[4:5], v[10:11]
	v_s_rcp_f32 s1, s1
	s_delay_alu instid0(VALU_DEP_1) | instskip(NEXT) | instid1(VALU_DEP_2)
	v_xor_b32_e32 v0, v4, v10
	v_xor_b32_e32 v14, v5, v10
	s_delay_alu instid0(TRANS32_DEP_1) | instskip(SKIP_1) | instid1(SALU_CYCLE_2)
	s_mul_f32 s1, s1, 0x5f7ffffc
	v_dual_mov_b32 v19, v1 :: v_dual_bitop2_b32 v10, s34, v10 bitop3:0x14
	s_mul_f32 s11, s1, 0x2f800000
	s_delay_alu instid0(SALU_CYCLE_3) | instskip(NEXT) | instid1(SALU_CYCLE_3)
	s_trunc_f32 s11, s11
	s_fmamk_f32 s1, s11, 0xcf800000, s1
	s_cvt_u32_f32 s37, s11
	s_delay_alu instid0(SALU_CYCLE_2) | instskip(NEXT) | instid1(SALU_CYCLE_3)
	s_cvt_u32_f32 s36, s1
	s_mul_u64 s[52:53], s[38:39], s[36:37]
	s_delay_alu instid0(SALU_CYCLE_1)
	s_mul_hi_u32 s57, s36, s53
	s_mul_i32 s56, s36, s53
	s_mul_hi_u32 s50, s36, s52
	s_mul_i32 s11, s37, s52
	s_add_nc_u64 s[50:51], s[50:51], s[56:57]
	s_mul_hi_u32 s1, s37, s52
	s_mul_hi_u32 s35, s37, s53
	s_add_co_u32 s11, s50, s11
	s_add_co_ci_u32 s54, s51, s1
	s_mul_i32 s52, s37, s53
	s_add_co_ci_u32 s53, s35, 0
	s_delay_alu instid0(SALU_CYCLE_1) | instskip(SKIP_3) | instid1(SALU_CYCLE_1)
	s_add_nc_u64 s[50:51], s[54:55], s[52:53]
	s_mov_b32 s53, s10
	s_add_co_u32 s36, s36, s50
	s_cselect_b32 s1, -1, 0
	s_cmp_lg_u32 s1, 0
	s_add_co_ci_u32 s37, s37, s51
	s_mov_b32 s51, s10
	s_mul_u64 s[38:39], s[38:39], s[36:37]
	s_delay_alu instid0(SALU_CYCLE_1)
	s_mul_hi_u32 s55, s36, s39
	s_mul_i32 s54, s36, s39
	s_mul_hi_u32 s52, s36, s38
	s_mul_i32 s11, s37, s38
	s_add_nc_u64 s[52:53], s[52:53], s[54:55]
	s_mul_hi_u32 s1, s37, s38
	s_mul_hi_u32 s35, s37, s39
	s_add_co_u32 s11, s52, s11
	s_add_co_ci_u32 s50, s53, s1
	s_mul_i32 s38, s37, s39
	s_add_co_ci_u32 s39, s35, 0
	s_delay_alu instid0(SALU_CYCLE_1) | instskip(NEXT) | instid1(SALU_CYCLE_1)
	s_add_nc_u64 s[38:39], s[50:51], s[38:39]
	s_add_co_u32 s36, s36, s38
	s_cselect_b32 s1, -1, 0
	v_mul_hi_u32 v18, v0, s36
	s_cmp_lg_u32 s1, 0
	s_add_co_ci_u32 s50, s37, s39
	s_and_b64 s[38:39], s[36:37], s[18:19]
	v_mul_u64_e32 v[12:13], s[50:51], v[0:1]
	v_mul_u64_e32 v[4:5], s[38:39], v[14:15]
	v_mul_u64_e32 v[16:17], s[50:51], v[14:15]
	s_delay_alu instid0(VALU_DEP_3) | instskip(NEXT) | instid1(VALU_DEP_1)
	v_add_nc_u64_e32 v[12:13], v[18:19], v[12:13]
	v_add_co_u32 v3, vcc_lo, v12, v4
	s_delay_alu instid0(VALU_DEP_2) | instskip(NEXT) | instid1(VALU_DEP_4)
	v_add_co_ci_u32_e32 v18, vcc_lo, v13, v5, vcc_lo
	v_add_co_ci_u32_e32 v17, vcc_lo, 0, v17, vcc_lo
	s_delay_alu instid0(VALU_DEP_1) | instskip(NEXT) | instid1(VALU_DEP_1)
	v_add_nc_u64_e32 v[4:5], v[18:19], v[16:17]
	v_mul_u64_e32 v[12:13], s[2:3], v[4:5]
	s_delay_alu instid0(VALU_DEP_1) | instskip(NEXT) | instid1(VALU_DEP_2)
	v_sub_nc_u32_e32 v3, v14, v13
	v_sub_co_u32 v0, vcc_lo, v0, v12
	s_delay_alu instid0(VALU_DEP_1) | instskip(NEXT) | instid1(VALU_DEP_3)
	v_sub_co_ci_u32_e64 v11, null, v14, v13, vcc_lo
	v_subrev_co_ci_u32_e64 v3, null, s3, v3, vcc_lo
	s_delay_alu instid0(VALU_DEP_3) | instskip(SKIP_1) | instid1(VALU_DEP_3)
	v_sub_co_u32 v7, s1, v0, s2
	v_add_nc_u64_e32 v[14:15], 1, v[4:5]
	v_subrev_co_ci_u32_e64 v3, null, 0, v3, s1
	s_delay_alu instid0(VALU_DEP_3) | instskip(SKIP_1) | instid1(VALU_DEP_3)
	v_cmp_le_u32_e32 vcc_lo, s2, v7
	v_cndmask_b32_e64 v7, 0, -1, vcc_lo
	v_cmp_le_u32_e32 vcc_lo, s3, v3
	v_cndmask_b32_e64 v12, 0, -1, vcc_lo
	;; [unrolled: 2-line block ×4, first 2 shown]
	v_cmp_eq_u32_e32 vcc_lo, s3, v3
	v_cndmask_b32_e32 v3, v12, v7, vcc_lo
	v_cmp_eq_u32_e32 vcc_lo, s3, v11
	v_add_nc_u64_e32 v[12:13], 2, v[4:5]
	v_cndmask_b32_e32 v0, v16, v0, vcc_lo
	s_delay_alu instid0(VALU_DEP_4) | instskip(NEXT) | instid1(VALU_DEP_3)
	v_cmp_ne_u32_e32 vcc_lo, 0, v3
	v_cndmask_b32_e32 v3, v15, v13, vcc_lo
	s_delay_alu instid0(VALU_DEP_3) | instskip(NEXT) | instid1(VALU_DEP_1)
	v_cmp_ne_u32_e64 s1, 0, v0
	v_dual_cndmask_b32 v0, v14, v12, vcc_lo :: v_dual_cndmask_b32 v3, v5, v3, s1
	s_delay_alu instid0(VALU_DEP_1) | instskip(NEXT) | instid1(VALU_DEP_2)
	v_dual_cndmask_b32 v0, v4, v0, s1 :: v_dual_mov_b32 v11, v10
	v_xor_b32_e32 v5, v3, v10
	s_delay_alu instid0(VALU_DEP_2) | instskip(NEXT) | instid1(VALU_DEP_1)
	v_xor_b32_e32 v4, v0, v10
	v_sub_nc_u64_e32 v[10:11], v[4:5], v[10:11]
                                        ; implicit-def: $vgpr4_vgpr5
	s_and_not1_saveexec_b32 s1, s4
	s_cbranch_execz .LBB0_22
.LBB0_24:                               ;   in Loop: Header=BB0_12 Depth=1
	v_mul_hi_u32 v0, v4, v24
	s_delay_alu instid0(VALU_DEP_1) | instskip(NEXT) | instid1(VALU_DEP_1)
	v_mul_lo_u32 v3, v0, s12
	v_dual_sub_nc_u32 v3, v4, v3 :: v_dual_add_nc_u32 v4, 1, v0
	s_delay_alu instid0(VALU_DEP_1) | instskip(SKIP_1) | instid1(VALU_DEP_2)
	v_subrev_nc_u32_e32 v5, s12, v3
	v_cmp_le_u32_e32 vcc_lo, s12, v3
	v_dual_cndmask_b32 v3, v3, v5 :: v_dual_cndmask_b32 v0, v0, v4
	s_delay_alu instid0(VALU_DEP_1) | instskip(NEXT) | instid1(VALU_DEP_2)
	v_cmp_le_u32_e32 vcc_lo, s12, v3
	v_add_nc_u32_e32 v4, 1, v0
	s_delay_alu instid0(VALU_DEP_1)
	v_cndmask_b32_e32 v10, v0, v4, vcc_lo
	s_or_b32 exec_lo, exec_lo, s1
	s_and_saveexec_b32 s35, s0
	s_cbranch_execz .LBB0_11
.LBB0_25:                               ;   in Loop: Header=BB0_12 Depth=1
	v_mad_nc_u64_u32 v[12:13], v6, s16, v[8:9]
	v_mul_lo_u32 v14, v2, s9
	s_mov_b32 s49, 0
	s_delay_alu instid0(VALU_DEP_2) | instskip(NEXT) | instid1(VALU_DEP_2)
	v_mad_nc_u64_u32 v[4:5], s24, v12, s[30:31]
	v_dual_ashrrev_i32 v15, 31, v14 :: v_dual_sub_nc_u32 v3, v10, v12
	v_dual_add_nc_u32 v6, s45, v6 :: v_dual_ashrrev_i32 v7, 31, v12
	s_delay_alu instid0(VALU_DEP_2) | instskip(NEXT) | instid1(VALU_DEP_3)
	v_lshlrev_b64_e32 v[10:11], 3, v[14:15]
	v_add_nc_u32_e32 v3, 1, v3
	s_delay_alu instid0(VALU_DEP_3) | instskip(SKIP_4) | instid1(VALU_DEP_3)
	v_mad_u32 v26, s5, v6, v8
	v_mad_u32 v0, s25, v12, v5
	v_add_nc_u32_e32 v5, s44, v12
	v_add_nc_u64_e32 v[8:9], s[22:23], v[10:11]
	v_cmp_lt_i32_e64 s1, 0, v3
	v_mul_lo_u32 v25, v5, s6
	v_mad_u32 v5, s24, v7, v0
	v_add_nc_u64_e32 v[6:7], s[20:21], v[10:11]
	v_mov_b32_e32 v0, v22
	s_branch .LBB0_28
.LBB0_26:                               ;   in Loop: Header=BB0_28 Depth=2
	v_mov_b64_e32 v[10:11], 0xfff0000000000000
.LBB0_27:                               ;   in Loop: Header=BB0_28 Depth=2
	v_lshlrev_b64_e32 v[12:13], 3, v[0:1]
	v_add_nc_u32_e32 v0, s40, v0
	s_delay_alu instid0(VALU_DEP_1) | instskip(NEXT) | instid1(VALU_DEP_3)
	v_cmp_le_i32_e32 vcc_lo, s9, v0
	v_add_nc_u64_e32 v[16:17], v[6:7], v[12:13]
	v_add_nc_u64_e32 v[12:13], v[8:9], v[12:13]
	global_store_b64 v[16:17], v[10:11], off
	global_store_b64 v[12:13], v[14:15], off
	s_or_b32 s49, vcc_lo, s49
	s_wait_xcnt 0x0
	s_and_not1_b32 exec_lo, exec_lo, s49
	s_cbranch_execz .LBB0_11
.LBB0_28:                               ;   Parent Loop BB0_12 Depth=1
                                        ; =>  This Loop Header: Depth=2
                                        ;       Child Loop BB0_44 Depth 3
                                        ;         Child Loop BB0_47 Depth 4
                                        ;           Child Loop BB0_49 Depth 5
	s_mov_b32 s11, s15
                                        ; implicit-def: $vgpr10_vgpr11
	s_delay_alu instid0(SALU_CYCLE_1) | instskip(SKIP_1) | instid1(SALU_CYCLE_1)
	s_cmp_lg_u64 s[10:11], 0
	s_cselect_b32 s2, -1, 0
	s_and_saveexec_b32 s3, s2
	s_delay_alu instid0(SALU_CYCLE_1)
	s_xor_b32 s3, exec_lo, s3
	s_cbranch_execz .LBB0_30
; %bb.29:                               ;   in Loop: Header=BB0_28 Depth=2
	s_ashr_i32 s36, s15, 31
	s_mov_b32 s55, s10
	s_mov_b32 s37, s36
	;; [unrolled: 1-line block ×3, first 2 shown]
	s_add_nc_u64 s[38:39], s[14:15], s[36:37]
	v_add_nc_u64_e32 v[10:11], 0, v[0:1]
	s_xor_b64 s[38:39], s[38:39], s[36:37]
	v_mov_b32_e32 v13, v1
	s_cvt_f32_u32 s2, s38
	s_cvt_f32_u32 s4, s39
	s_sub_nc_u64 s[52:53], 0, s[38:39]
	s_delay_alu instid0(VALU_DEP_2) | instskip(NEXT) | instid1(SALU_CYCLE_1)
	v_dual_mov_b32 v15, v1 :: v_dual_mov_b32 v14, v11
	s_fmamk_f32 s2, s4, 0x4f800000, s2
	v_dual_mov_b32 v12, v10 :: v_dual_mov_b32 v19, v1
	s_delay_alu instid0(SALU_CYCLE_2) | instskip(NEXT) | instid1(TRANS32_DEP_1)
	v_s_rcp_f32 s2, s2
	s_mul_f32 s2, s2, 0x5f7ffffc
	s_delay_alu instid0(SALU_CYCLE_3) | instskip(NEXT) | instid1(SALU_CYCLE_3)
	s_mul_f32 s4, s2, 0x2f800000
	s_trunc_f32 s4, s4
	s_delay_alu instid0(SALU_CYCLE_3) | instskip(SKIP_1) | instid1(SALU_CYCLE_2)
	s_fmamk_f32 s2, s4, 0xcf800000, s2
	s_cvt_u32_f32 s51, s4
	s_cvt_u32_f32 s50, s2
	s_delay_alu instid0(SALU_CYCLE_3) | instskip(NEXT) | instid1(SALU_CYCLE_1)
	s_mul_u64 s[56:57], s[52:53], s[50:51]
	s_mul_hi_u32 s61, s50, s57
	s_mul_i32 s60, s50, s57
	s_mul_hi_u32 s54, s50, s56
	s_mul_i32 s4, s51, s56
	s_add_nc_u64 s[54:55], s[54:55], s[60:61]
	s_mul_hi_u32 s2, s51, s56
	s_mul_hi_u32 s11, s51, s57
	s_add_co_u32 s4, s54, s4
	s_add_co_ci_u32 s58, s55, s2
	s_mul_i32 s56, s51, s57
	s_add_co_ci_u32 s57, s11, 0
	s_delay_alu instid0(SALU_CYCLE_1) | instskip(SKIP_3) | instid1(SALU_CYCLE_1)
	s_add_nc_u64 s[54:55], s[58:59], s[56:57]
	s_mov_b32 s57, s10
	s_add_co_u32 s50, s50, s54
	s_cselect_b32 s2, -1, 0
	s_cmp_lg_u32 s2, 0
	s_add_co_ci_u32 s51, s51, s55
	s_mov_b32 s55, s10
	s_mul_u64 s[52:53], s[52:53], s[50:51]
	s_delay_alu instid0(SALU_CYCLE_1)
	s_mul_hi_u32 s59, s50, s53
	s_mul_i32 s58, s50, s53
	s_mul_hi_u32 s56, s50, s52
	s_mul_i32 s4, s51, s52
	s_add_nc_u64 s[56:57], s[56:57], s[58:59]
	s_mul_hi_u32 s2, s51, s52
	s_mul_hi_u32 s11, s51, s53
	s_add_co_u32 s4, s56, s4
	s_add_co_ci_u32 s54, s57, s2
	s_mul_i32 s52, s51, s53
	s_add_co_ci_u32 s53, s11, 0
	s_delay_alu instid0(SALU_CYCLE_1) | instskip(NEXT) | instid1(SALU_CYCLE_1)
	s_add_nc_u64 s[52:53], s[54:55], s[52:53]
	s_add_co_u32 s2, s50, s52
	s_cselect_b32 s4, -1, 0
	v_nop
	v_mul_hi_u32 v18, v10, s2
	s_cmp_lg_u32 s4, 0
	s_add_co_ci_u32 s54, s51, s53
	s_and_b64 s[50:51], s[2:3], s[18:19]
	v_mul_u64_e32 v[12:13], s[54:55], v[12:13]
	v_mul_u64_e32 v[16:17], s[50:51], v[14:15]
	;; [unrolled: 1-line block ×3, first 2 shown]
	s_delay_alu instid0(VALU_DEP_3) | instskip(NEXT) | instid1(VALU_DEP_1)
	v_add_nc_u64_e32 v[12:13], v[18:19], v[12:13]
	v_add_co_u32 v12, vcc_lo, v12, v16
	s_delay_alu instid0(VALU_DEP_2) | instskip(NEXT) | instid1(VALU_DEP_4)
	v_add_co_ci_u32_e32 v18, vcc_lo, v13, v17, vcc_lo
	v_add_co_ci_u32_e32 v15, vcc_lo, 0, v15, vcc_lo
	s_delay_alu instid0(VALU_DEP_1) | instskip(NEXT) | instid1(VALU_DEP_1)
	v_add_nc_u64_e32 v[12:13], v[18:19], v[14:15]
	v_mul_u64_e32 v[14:15], s[38:39], v[12:13]
	s_delay_alu instid0(VALU_DEP_1) | instskip(NEXT) | instid1(VALU_DEP_2)
	v_sub_nc_u32_e32 v16, v11, v15
	v_sub_co_u32 v10, vcc_lo, v10, v14
	s_delay_alu instid0(VALU_DEP_1) | instskip(NEXT) | instid1(VALU_DEP_3)
	v_sub_co_ci_u32_e64 v15, null, v11, v15, vcc_lo
	v_subrev_co_ci_u32_e64 v14, null, s39, v16, vcc_lo
	s_delay_alu instid0(VALU_DEP_3) | instskip(SKIP_1) | instid1(VALU_DEP_3)
	v_sub_co_u32 v18, s2, v10, s38
	v_cmp_le_u32_e32 vcc_lo, s38, v10
	v_subrev_co_ci_u32_e64 v14, null, 0, v14, s2
	s_delay_alu instid0(VALU_DEP_3) | instskip(SKIP_2) | instid1(VALU_DEP_4)
	v_cmp_le_u32_e64 s2, s38, v18
	v_add_nc_u64_e32 v[16:17], 2, v[12:13]
	v_cndmask_b32_e64 v20, 0, -1, vcc_lo
	v_cmp_eq_u32_e32 vcc_lo, s39, v14
	v_add_nc_u64_e32 v[10:11], 1, v[12:13]
	v_cndmask_b32_e64 v18, 0, -1, s2
	v_cmp_le_u32_e64 s2, s39, v14
	s_delay_alu instid0(VALU_DEP_1) | instskip(SKIP_1) | instid1(VALU_DEP_2)
	v_cndmask_b32_e64 v19, 0, -1, s2
	v_cmp_eq_u32_e64 s2, s39, v15
	v_cndmask_b32_e32 v14, v19, v18, vcc_lo
	v_cmp_le_u32_e32 vcc_lo, s39, v15
	v_cndmask_b32_e64 v18, 0, -1, vcc_lo
	s_delay_alu instid0(VALU_DEP_3) | instskip(NEXT) | instid1(VALU_DEP_2)
	v_cmp_ne_u32_e32 vcc_lo, 0, v14
	v_dual_cndmask_b32 v14, v18, v20, s2 :: v_dual_cndmask_b32 v11, v11, v17, vcc_lo
	v_cndmask_b32_e32 v10, v10, v16, vcc_lo
	s_delay_alu instid0(VALU_DEP_2) | instskip(NEXT) | instid1(VALU_DEP_2)
	v_cmp_ne_u32_e32 vcc_lo, 0, v14
	v_dual_cndmask_b32 v13, v13, v11 :: v_dual_cndmask_b32 v12, v12, v10
	v_dual_mov_b32 v11, s36 :: v_dual_mov_b32 v10, s36
	s_delay_alu instid0(VALU_DEP_2) | instskip(NEXT) | instid1(VALU_DEP_3)
	v_xor_b32_e32 v13, s36, v13
	v_xor_b32_e32 v12, s36, v12
	s_delay_alu instid0(VALU_DEP_1)
	v_sub_nc_u64_e32 v[10:11], v[12:13], v[10:11]
.LBB0_30:                               ;   in Loop: Header=BB0_28 Depth=2
	s_and_not1_saveexec_b32 s2, s3
	s_cbranch_execz .LBB0_32
; %bb.31:                               ;   in Loop: Header=BB0_28 Depth=2
	v_cvt_f32_u32_e32 v10, s14
	s_sub_co_i32 s3, 0, s14
	s_delay_alu instid0(VALU_DEP_1) | instskip(SKIP_1) | instid1(TRANS32_DEP_1)
	v_rcp_iflag_f32_e32 v10, v10
	v_nop
	v_mul_f32_e32 v10, 0x4f7ffffe, v10
	s_delay_alu instid0(VALU_DEP_1) | instskip(NEXT) | instid1(VALU_DEP_1)
	v_cvt_u32_f32_e32 v10, v10
	v_mul_lo_u32 v11, s3, v10
	s_delay_alu instid0(VALU_DEP_1) | instskip(NEXT) | instid1(VALU_DEP_1)
	v_mul_hi_u32 v11, v10, v11
	v_add_nc_u32_e32 v10, v10, v11
	s_delay_alu instid0(VALU_DEP_1) | instskip(NEXT) | instid1(VALU_DEP_1)
	v_mul_hi_u32 v10, v0, v10
	v_mul_lo_u32 v11, v10, s14
	s_delay_alu instid0(VALU_DEP_1) | instskip(NEXT) | instid1(VALU_DEP_1)
	v_dual_add_nc_u32 v12, 1, v10 :: v_dual_sub_nc_u32 v11, v0, v11
	v_subrev_nc_u32_e32 v13, s14, v11
	v_cmp_le_u32_e32 vcc_lo, s14, v11
	s_delay_alu instid0(VALU_DEP_2) | instskip(NEXT) | instid1(VALU_DEP_1)
	v_dual_cndmask_b32 v11, v11, v13 :: v_dual_cndmask_b32 v10, v10, v12
	v_cmp_le_u32_e32 vcc_lo, s14, v11
	s_delay_alu instid0(VALU_DEP_2) | instskip(NEXT) | instid1(VALU_DEP_1)
	v_dual_mov_b32 v11, v1 :: v_dual_add_nc_u32 v12, 1, v10
	v_cndmask_b32_e32 v10, v10, v12, vcc_lo
.LBB0_32:                               ;   in Loop: Header=BB0_28 Depth=2
	s_or_b32 exec_lo, exec_lo, s2
	s_delay_alu instid0(VALU_DEP_1) | instskip(NEXT) | instid1(VALU_DEP_1)
	v_mul_u64_e32 v[12:13], s[14:15], v[10:11]
	v_sub_nc_u64_e32 v[12:13], v[0:1], v[12:13]
	s_delay_alu instid0(VALU_DEP_1) | instskip(NEXT) | instid1(VALU_DEP_1)
	v_mul_u64_e32 v[14:15], s[6:7], v[12:13]
	v_dual_mov_b32 v12, v1 :: v_dual_bitop2_b32 v13, s15, v15 bitop3:0x54
	s_delay_alu instid0(VALU_DEP_1) | instskip(SKIP_1) | instid1(SALU_CYCLE_1)
	v_cmp_ne_u64_e32 vcc_lo, 0, v[12:13]
                                        ; implicit-def: $vgpr12_vgpr13
	s_and_saveexec_b32 s2, vcc_lo
	s_xor_b32 s3, exec_lo, s2
	s_cbranch_execz .LBB0_34
; %bb.33:                               ;   in Loop: Header=BB0_28 Depth=2
	s_ashr_i32 s36, s15, 31
	s_mov_b32 s55, s10
	s_mov_b32 s37, s36
	;; [unrolled: 1-line block ×3, first 2 shown]
	s_add_nc_u64 s[38:39], s[14:15], s[36:37]
	v_dual_mov_b32 v17, v1 :: v_dual_ashrrev_i32 v12, 31, v15
	s_xor_b64 s[38:39], s[38:39], s[36:37]
	s_delay_alu instid0(SALU_CYCLE_1) | instskip(SKIP_3) | instid1(SALU_CYCLE_1)
	s_cvt_f32_u32 s2, s38
	s_cvt_f32_u32 s4, s39
	s_sub_nc_u64 s[52:53], 0, s[38:39]
	v_mov_b32_e32 v13, v12
	s_fmamk_f32 s2, s4, 0x4f800000, s2
	s_delay_alu instid0(VALU_DEP_1) | instskip(NEXT) | instid1(SALU_CYCLE_2)
	v_add_nc_u64_e32 v[14:15], v[14:15], v[12:13]
	v_s_rcp_f32 s2, s2
	s_delay_alu instid0(VALU_DEP_1) | instskip(NEXT) | instid1(VALU_DEP_2)
	v_dual_mov_b32 v21, v1 :: v_dual_bitop2_b32 v20, v15, v12 bitop3:0x14
	v_xor_b32_e32 v16, v14, v12
	s_delay_alu instid0(TRANS32_DEP_1) | instskip(SKIP_1) | instid1(SALU_CYCLE_2)
	s_mul_f32 s2, s2, 0x5f7ffffc
	v_dual_mov_b32 v31, v1 :: v_dual_bitop2_b32 v12, s36, v12 bitop3:0x14
	s_mul_f32 s4, s2, 0x2f800000
	s_delay_alu instid0(SALU_CYCLE_3) | instskip(NEXT) | instid1(SALU_CYCLE_3)
	s_trunc_f32 s4, s4
	s_fmamk_f32 s2, s4, 0xcf800000, s2
	s_cvt_u32_f32 s51, s4
	s_delay_alu instid0(SALU_CYCLE_2) | instskip(NEXT) | instid1(SALU_CYCLE_3)
	s_cvt_u32_f32 s50, s2
	s_mul_u64 s[56:57], s[52:53], s[50:51]
	s_delay_alu instid0(SALU_CYCLE_1)
	s_mul_hi_u32 s61, s50, s57
	s_mul_i32 s60, s50, s57
	s_mul_hi_u32 s54, s50, s56
	s_mul_i32 s4, s51, s56
	s_add_nc_u64 s[54:55], s[54:55], s[60:61]
	s_mul_hi_u32 s2, s51, s56
	s_mul_hi_u32 s11, s51, s57
	s_add_co_u32 s4, s54, s4
	s_add_co_ci_u32 s58, s55, s2
	s_mul_i32 s56, s51, s57
	s_add_co_ci_u32 s57, s11, 0
	s_delay_alu instid0(SALU_CYCLE_1) | instskip(SKIP_3) | instid1(SALU_CYCLE_1)
	s_add_nc_u64 s[54:55], s[58:59], s[56:57]
	s_mov_b32 s57, s10
	s_add_co_u32 s50, s50, s54
	s_cselect_b32 s2, -1, 0
	s_cmp_lg_u32 s2, 0
	s_add_co_ci_u32 s51, s51, s55
	s_mov_b32 s55, s10
	s_mul_u64 s[52:53], s[52:53], s[50:51]
	s_delay_alu instid0(SALU_CYCLE_1)
	s_mul_hi_u32 s59, s50, s53
	s_mul_i32 s58, s50, s53
	s_mul_hi_u32 s56, s50, s52
	s_mul_i32 s4, s51, s52
	s_add_nc_u64 s[56:57], s[56:57], s[58:59]
	s_mul_hi_u32 s2, s51, s52
	s_mul_hi_u32 s11, s51, s53
	s_add_co_u32 s4, s56, s4
	s_add_co_ci_u32 s54, s57, s2
	s_mul_i32 s52, s51, s53
	s_add_co_ci_u32 s53, s11, 0
	s_delay_alu instid0(SALU_CYCLE_1) | instskip(NEXT) | instid1(SALU_CYCLE_1)
	s_add_nc_u64 s[52:53], s[54:55], s[52:53]
	s_add_co_u32 s2, s50, s52
	s_cselect_b32 s4, -1, 0
	v_mul_hi_u32 v30, v16, s2
	s_cmp_lg_u32 s4, 0
	s_add_co_ci_u32 s54, s51, s53
	s_and_b64 s[50:51], s[2:3], s[18:19]
	v_mul_u64_e32 v[18:19], s[54:55], v[16:17]
	v_mul_u64_e32 v[14:15], s[50:51], v[20:21]
	;; [unrolled: 1-line block ×3, first 2 shown]
	s_delay_alu instid0(VALU_DEP_3) | instskip(NEXT) | instid1(VALU_DEP_1)
	v_add_nc_u64_e32 v[18:19], v[30:31], v[18:19]
	v_add_co_u32 v11, vcc_lo, v18, v14
	s_delay_alu instid0(VALU_DEP_2) | instskip(NEXT) | instid1(VALU_DEP_4)
	v_add_co_ci_u32_e32 v30, vcc_lo, v19, v15, vcc_lo
	v_add_co_ci_u32_e32 v29, vcc_lo, 0, v29, vcc_lo
	s_delay_alu instid0(VALU_DEP_1) | instskip(NEXT) | instid1(VALU_DEP_1)
	v_add_nc_u64_e32 v[14:15], v[30:31], v[28:29]
	v_mul_u64_e32 v[18:19], s[38:39], v[14:15]
	s_delay_alu instid0(VALU_DEP_1) | instskip(NEXT) | instid1(VALU_DEP_2)
	v_sub_nc_u32_e32 v11, v20, v19
	v_sub_co_u32 v13, vcc_lo, v16, v18
	s_delay_alu instid0(VALU_DEP_1) | instskip(NEXT) | instid1(VALU_DEP_3)
	v_sub_co_ci_u32_e64 v20, null, v20, v19, vcc_lo
	v_subrev_co_ci_u32_e64 v11, null, s39, v11, vcc_lo
	s_delay_alu instid0(VALU_DEP_3) | instskip(SKIP_1) | instid1(VALU_DEP_3)
	v_sub_co_u32 v16, s2, v13, s38
	v_add_nc_u64_e32 v[18:19], 1, v[14:15]
	v_subrev_co_ci_u32_e64 v11, null, 0, v11, s2
	s_delay_alu instid0(VALU_DEP_3) | instskip(SKIP_1) | instid1(VALU_DEP_3)
	v_cmp_le_u32_e32 vcc_lo, s38, v16
	v_cndmask_b32_e64 v16, 0, -1, vcc_lo
	v_cmp_le_u32_e32 vcc_lo, s39, v11
	v_cndmask_b32_e64 v17, 0, -1, vcc_lo
	;; [unrolled: 2-line block ×4, first 2 shown]
	v_cmp_eq_u32_e32 vcc_lo, s39, v11
	v_cndmask_b32_e32 v11, v17, v16, vcc_lo
	v_cmp_eq_u32_e32 vcc_lo, s39, v20
	v_add_nc_u64_e32 v[16:17], 2, v[14:15]
	v_cndmask_b32_e32 v13, v21, v13, vcc_lo
	s_delay_alu instid0(VALU_DEP_4) | instskip(NEXT) | instid1(VALU_DEP_2)
	v_cmp_ne_u32_e32 vcc_lo, 0, v11
	v_cmp_ne_u32_e64 s2, 0, v13
	s_delay_alu instid0(VALU_DEP_4) | instskip(NEXT) | instid1(VALU_DEP_1)
	v_dual_cndmask_b32 v11, v19, v17, vcc_lo :: v_dual_cndmask_b32 v13, v18, v16, vcc_lo
	v_dual_cndmask_b32 v14, v14, v13, s2 :: v_dual_mov_b32 v13, v12
	s_delay_alu instid0(VALU_DEP_1) | instskip(NEXT) | instid1(VALU_DEP_1)
	v_dual_cndmask_b32 v11, v15, v11, s2 :: v_dual_bitop2_b32 v14, v14, v12 bitop3:0x14
	v_xor_b32_e32 v15, v11, v12
	s_delay_alu instid0(VALU_DEP_1)
	v_sub_nc_u64_e32 v[12:13], v[14:15], v[12:13]
                                        ; implicit-def: $vgpr14_vgpr15
.LBB0_34:                               ;   in Loop: Header=BB0_28 Depth=2
	s_and_not1_saveexec_b32 s2, s3
	s_cbranch_execz .LBB0_36
; %bb.35:                               ;   in Loop: Header=BB0_28 Depth=2
	v_cvt_f32_u32_e32 v11, s14
	s_sub_co_i32 s3, 0, s14
	s_delay_alu instid0(VALU_DEP_1) | instskip(SKIP_1) | instid1(TRANS32_DEP_1)
	v_rcp_iflag_f32_e32 v11, v11
	v_nop
	v_mul_f32_e32 v11, 0x4f7ffffe, v11
	s_delay_alu instid0(VALU_DEP_1) | instskip(NEXT) | instid1(VALU_DEP_1)
	v_cvt_u32_f32_e32 v11, v11
	v_mul_lo_u32 v12, s3, v11
	s_delay_alu instid0(VALU_DEP_1) | instskip(NEXT) | instid1(VALU_DEP_1)
	v_mul_hi_u32 v12, v11, v12
	v_add_nc_u32_e32 v11, v11, v12
	s_delay_alu instid0(VALU_DEP_1) | instskip(NEXT) | instid1(VALU_DEP_1)
	v_mul_hi_u32 v11, v14, v11
	v_mul_lo_u32 v12, v11, s14
	s_delay_alu instid0(VALU_DEP_1) | instskip(NEXT) | instid1(VALU_DEP_1)
	v_dual_add_nc_u32 v13, 1, v11 :: v_dual_sub_nc_u32 v12, v14, v12
	v_subrev_nc_u32_e32 v14, s14, v12
	v_cmp_le_u32_e32 vcc_lo, s14, v12
	s_delay_alu instid0(VALU_DEP_2) | instskip(NEXT) | instid1(VALU_DEP_1)
	v_dual_cndmask_b32 v12, v12, v14 :: v_dual_cndmask_b32 v11, v11, v13
	v_cmp_le_u32_e32 vcc_lo, s14, v12
	s_delay_alu instid0(VALU_DEP_2) | instskip(NEXT) | instid1(VALU_DEP_1)
	v_add_nc_u32_e32 v13, 1, v11
	v_dual_cndmask_b32 v12, v11, v13 :: v_dual_mov_b32 v13, v1
.LBB0_36:                               ;   in Loop: Header=BB0_28 Depth=2
	s_or_b32 exec_lo, exec_lo, s2
	v_dual_mov_b32 v16, v1 :: v_dual_add_nc_u32 v11, 1, v0
                                        ; implicit-def: $vgpr18_vgpr19
	s_mov_b32 s2, exec_lo
	s_delay_alu instid0(VALU_DEP_1) | instskip(NEXT) | instid1(VALU_DEP_1)
	v_mad_nc_u64_u32 v[14:15], v11, s6, -1
	v_mad_u32 v15, v11, s7, v15
	s_delay_alu instid0(VALU_DEP_1) | instskip(NEXT) | instid1(VALU_DEP_1)
	v_or_b32_e32 v17, s15, v15
	v_cmpx_ne_u64_e32 0, v[16:17]
	s_xor_b32 s3, exec_lo, s2
	s_cbranch_execz .LBB0_38
; %bb.37:                               ;   in Loop: Header=BB0_28 Depth=2
	s_ashr_i32 s36, s15, 31
	s_mov_b32 s55, s10
	s_mov_b32 s37, s36
	;; [unrolled: 1-line block ×3, first 2 shown]
	s_add_nc_u64 s[38:39], s[14:15], s[36:37]
	v_dual_mov_b32 v19, v1 :: v_dual_ashrrev_i32 v16, 31, v15
	s_xor_b64 s[38:39], s[38:39], s[36:37]
	s_delay_alu instid0(SALU_CYCLE_1) | instskip(SKIP_3) | instid1(SALU_CYCLE_1)
	s_cvt_f32_u32 s2, s38
	s_cvt_f32_u32 s4, s39
	s_sub_nc_u64 s[52:53], 0, s[38:39]
	v_mov_b32_e32 v17, v16
	s_fmamk_f32 s2, s4, 0x4f800000, s2
	s_delay_alu instid0(VALU_DEP_1) | instskip(NEXT) | instid1(SALU_CYCLE_2)
	v_add_nc_u64_e32 v[14:15], v[14:15], v[16:17]
	v_s_rcp_f32 s2, s2
	s_delay_alu instid0(VALU_DEP_1) | instskip(NEXT) | instid1(VALU_DEP_2)
	v_dual_mov_b32 v29, v1 :: v_dual_bitop2_b32 v28, v15, v16 bitop3:0x14
	v_xor_b32_e32 v18, v14, v16
	s_delay_alu instid0(TRANS32_DEP_1) | instskip(SKIP_1) | instid1(SALU_CYCLE_2)
	s_mul_f32 s2, s2, 0x5f7ffffc
	v_mov_b32_e32 v33, v1
	s_mul_f32 s4, s2, 0x2f800000
	s_delay_alu instid0(SALU_CYCLE_3) | instskip(NEXT) | instid1(SALU_CYCLE_3)
	s_trunc_f32 s4, s4
	s_fmamk_f32 s2, s4, 0xcf800000, s2
	s_cvt_u32_f32 s51, s4
	s_delay_alu instid0(SALU_CYCLE_2) | instskip(NEXT) | instid1(SALU_CYCLE_3)
	s_cvt_u32_f32 s50, s2
	s_mul_u64 s[56:57], s[52:53], s[50:51]
	s_delay_alu instid0(SALU_CYCLE_1)
	s_mul_hi_u32 s61, s50, s57
	s_mul_i32 s60, s50, s57
	s_mul_hi_u32 s54, s50, s56
	s_mul_i32 s4, s51, s56
	s_add_nc_u64 s[54:55], s[54:55], s[60:61]
	s_mul_hi_u32 s2, s51, s56
	s_mul_hi_u32 s11, s51, s57
	s_add_co_u32 s4, s54, s4
	s_add_co_ci_u32 s58, s55, s2
	s_mul_i32 s56, s51, s57
	s_add_co_ci_u32 s57, s11, 0
	s_delay_alu instid0(SALU_CYCLE_1) | instskip(SKIP_3) | instid1(SALU_CYCLE_1)
	s_add_nc_u64 s[54:55], s[58:59], s[56:57]
	s_mov_b32 s57, s10
	s_add_co_u32 s50, s50, s54
	s_cselect_b32 s2, -1, 0
	s_cmp_lg_u32 s2, 0
	s_add_co_ci_u32 s51, s51, s55
	s_mov_b32 s55, s10
	s_mul_u64 s[52:53], s[52:53], s[50:51]
	s_delay_alu instid0(SALU_CYCLE_1)
	s_mul_hi_u32 s59, s50, s53
	s_mul_i32 s58, s50, s53
	s_mul_hi_u32 s56, s50, s52
	s_mul_i32 s4, s51, s52
	s_add_nc_u64 s[56:57], s[56:57], s[58:59]
	s_mul_hi_u32 s2, s51, s52
	s_mul_hi_u32 s11, s51, s53
	s_add_co_u32 s4, s56, s4
	s_add_co_ci_u32 s54, s57, s2
	s_mul_i32 s52, s51, s53
	s_add_co_ci_u32 s53, s11, 0
	s_delay_alu instid0(SALU_CYCLE_1) | instskip(NEXT) | instid1(SALU_CYCLE_1)
	s_add_nc_u64 s[52:53], s[54:55], s[52:53]
	s_add_co_u32 s2, s50, s52
	s_cselect_b32 s4, -1, 0
	v_mul_hi_u32 v32, v18, s2
	s_cmp_lg_u32 s4, 0
	s_add_co_ci_u32 s54, s51, s53
	s_and_b64 s[50:51], s[2:3], s[18:19]
	v_mul_u64_e32 v[20:21], s[54:55], v[18:19]
	v_mul_u64_e32 v[14:15], s[50:51], v[28:29]
	;; [unrolled: 1-line block ×3, first 2 shown]
	s_delay_alu instid0(VALU_DEP_3) | instskip(NEXT) | instid1(VALU_DEP_1)
	v_add_nc_u64_e32 v[20:21], v[32:33], v[20:21]
	v_add_co_u32 v11, vcc_lo, v20, v14
	s_delay_alu instid0(VALU_DEP_2) | instskip(NEXT) | instid1(VALU_DEP_4)
	v_add_co_ci_u32_e32 v32, vcc_lo, v21, v15, vcc_lo
	v_add_co_ci_u32_e32 v31, vcc_lo, 0, v31, vcc_lo
	s_delay_alu instid0(VALU_DEP_1) | instskip(NEXT) | instid1(VALU_DEP_1)
	v_add_nc_u64_e32 v[14:15], v[32:33], v[30:31]
	v_mul_u64_e32 v[20:21], s[38:39], v[14:15]
	s_delay_alu instid0(VALU_DEP_1) | instskip(NEXT) | instid1(VALU_DEP_2)
	v_sub_nc_u32_e32 v11, v28, v21
	v_sub_co_u32 v17, vcc_lo, v18, v20
	s_delay_alu instid0(VALU_DEP_1) | instskip(NEXT) | instid1(VALU_DEP_3)
	v_sub_co_ci_u32_e64 v27, null, v28, v21, vcc_lo
	v_subrev_co_ci_u32_e64 v11, null, s39, v11, vcc_lo
	s_delay_alu instid0(VALU_DEP_3) | instskip(SKIP_1) | instid1(VALU_DEP_3)
	v_sub_co_u32 v18, s2, v17, s38
	v_add_nc_u64_e32 v[20:21], 1, v[14:15]
	v_subrev_co_ci_u32_e64 v11, null, 0, v11, s2
	s_delay_alu instid0(VALU_DEP_3) | instskip(SKIP_1) | instid1(VALU_DEP_3)
	v_cmp_le_u32_e32 vcc_lo, s38, v18
	v_cndmask_b32_e64 v18, 0, -1, vcc_lo
	v_cmp_le_u32_e32 vcc_lo, s39, v11
	v_cndmask_b32_e64 v19, 0, -1, vcc_lo
	;; [unrolled: 2-line block ×4, first 2 shown]
	v_cmp_eq_u32_e32 vcc_lo, s39, v11
	v_cndmask_b32_e32 v11, v19, v18, vcc_lo
	v_cmp_eq_u32_e32 vcc_lo, s39, v27
	v_add_nc_u64_e32 v[18:19], 2, v[14:15]
	v_cndmask_b32_e32 v17, v28, v17, vcc_lo
	s_delay_alu instid0(VALU_DEP_4) | instskip(NEXT) | instid1(VALU_DEP_2)
	v_cmp_ne_u32_e32 vcc_lo, 0, v11
	v_cmp_ne_u32_e64 s2, 0, v17
	s_delay_alu instid0(VALU_DEP_4) | instskip(NEXT) | instid1(VALU_DEP_1)
	v_dual_cndmask_b32 v11, v21, v19, vcc_lo :: v_dual_cndmask_b32 v17, v20, v18, vcc_lo
	v_dual_cndmask_b32 v11, v15, v11, s2 :: v_dual_bitop2_b32 v16, s36, v16 bitop3:0x14
	s_delay_alu instid0(VALU_DEP_1) | instskip(NEXT) | instid1(VALU_DEP_2)
	v_dual_cndmask_b32 v14, v14, v17, s2 :: v_dual_mov_b32 v17, v16
	v_xor_b32_e32 v15, v11, v16
	s_delay_alu instid0(VALU_DEP_2) | instskip(NEXT) | instid1(VALU_DEP_1)
	v_xor_b32_e32 v14, v14, v16
	v_sub_nc_u64_e32 v[18:19], v[14:15], v[16:17]
                                        ; implicit-def: $vgpr14_vgpr15
.LBB0_38:                               ;   in Loop: Header=BB0_28 Depth=2
	s_and_not1_saveexec_b32 s2, s3
	s_cbranch_execz .LBB0_40
; %bb.39:                               ;   in Loop: Header=BB0_28 Depth=2
	v_cvt_f32_u32_e32 v11, s14
	s_sub_co_i32 s3, 0, s14
	s_delay_alu instid0(VALU_DEP_1) | instskip(SKIP_1) | instid1(TRANS32_DEP_1)
	v_rcp_iflag_f32_e32 v11, v11
	v_nop
	v_mul_f32_e32 v11, 0x4f7ffffe, v11
	s_delay_alu instid0(VALU_DEP_1) | instskip(NEXT) | instid1(VALU_DEP_1)
	v_cvt_u32_f32_e32 v11, v11
	v_mul_lo_u32 v15, s3, v11
	s_delay_alu instid0(VALU_DEP_1) | instskip(NEXT) | instid1(VALU_DEP_1)
	v_mul_hi_u32 v15, v11, v15
	v_add_nc_u32_e32 v11, v11, v15
	s_delay_alu instid0(VALU_DEP_1) | instskip(NEXT) | instid1(VALU_DEP_1)
	v_mul_hi_u32 v11, v14, v11
	v_mul_lo_u32 v15, v11, s14
	s_delay_alu instid0(VALU_DEP_1) | instskip(SKIP_1) | instid1(VALU_DEP_2)
	v_sub_nc_u32_e32 v14, v14, v15
	v_add_nc_u32_e32 v15, 1, v11
	v_subrev_nc_u32_e32 v16, s14, v14
	v_cmp_le_u32_e32 vcc_lo, s14, v14
	s_delay_alu instid0(VALU_DEP_2) | instskip(NEXT) | instid1(VALU_DEP_1)
	v_dual_cndmask_b32 v14, v14, v16 :: v_dual_cndmask_b32 v11, v11, v15
	v_cmp_le_u32_e32 vcc_lo, s14, v14
	s_delay_alu instid0(VALU_DEP_2) | instskip(NEXT) | instid1(VALU_DEP_1)
	v_add_nc_u32_e32 v15, 1, v11
	v_cndmask_b32_e32 v18, v11, v15, vcc_lo
.LBB0_40:                               ;   in Loop: Header=BB0_28 Depth=2
	s_or_b32 exec_lo, exec_lo, s2
	v_mad_nc_u64_u32 v[20:21], v10, s6, v[12:13]
	s_and_not1_b32 vcc_lo, exec_lo, s41
	s_delay_alu instid0(VALU_DEP_1) | instskip(NEXT) | instid1(VALU_DEP_1)
	v_add_nc_u32_e32 v14, v25, v20
	v_ashrrev_i32_e32 v15, 31, v14
	s_cbranch_vccnz .LBB0_26
; %bb.41:                               ;   in Loop: Header=BB0_28 Depth=2
	v_mad_nc_u64_u32 v[16:17], s26, v20, v[4:5]
	v_dual_ashrrev_i32 v13, 31, v20 :: v_dual_add_nc_u32 v10, v26, v10
	v_sub_nc_u32_e32 v18, v18, v20
	s_mov_b32 s11, 0
	s_delay_alu instid0(VALU_DEP_1) | instskip(NEXT) | instid1(VALU_DEP_4)
	v_add_nc_u32_e32 v21, 1, v18
	v_mad_u32 v11, s27, v20, v17
	v_mad_u32 v20, s6, v10, v12
	s_delay_alu instid0(VALU_DEP_3) | instskip(NEXT) | instid1(VALU_DEP_3)
	v_cmp_lt_i32_e32 vcc_lo, 0, v21
	v_mad_u32 v17, s26, v13, v11
	v_mov_b64_e32 v[10:11], 0xfff0000000000000
	s_branch .LBB0_44
.LBB0_42:                               ;   in Loop: Header=BB0_44 Depth=3
	s_or_b32 exec_lo, exec_lo, s37
.LBB0_43:                               ;   in Loop: Header=BB0_44 Depth=3
	s_delay_alu instid0(SALU_CYCLE_1) | instskip(NEXT) | instid1(VALU_DEP_2)
	s_or_b32 exec_lo, exec_lo, s36
	v_add_nc_u64_e32 v[16:17], s[28:29], v[16:17]
	s_delay_alu instid0(VALU_DEP_2) | instskip(SKIP_1) | instid1(SALU_CYCLE_1)
	v_add_nc_u32_e32 v20, s47, v20
	s_add_co_i32 s11, s11, 1
	s_cmp_lt_i32 s11, s33
	s_cbranch_scc0 .LBB0_27
.LBB0_44:                               ;   Parent Loop BB0_12 Depth=1
                                        ;     Parent Loop BB0_28 Depth=2
                                        ; =>    This Loop Header: Depth=3
                                        ;         Child Loop BB0_47 Depth 4
                                        ;           Child Loop BB0_49 Depth 5
	s_and_saveexec_b32 s36, s1
	s_cbranch_execz .LBB0_43
; %bb.45:                               ;   in Loop: Header=BB0_44 Depth=3
	s_delay_alu instid0(VALU_DEP_2) | instskip(NEXT) | instid1(VALU_DEP_2)
	v_mov_b64_e32 v[12:13], v[16:17]
	v_mov_b32_e32 v27, v20
	s_mov_b32 s37, 0
	s_mov_b32 s38, 0
	s_branch .LBB0_47
.LBB0_46:                               ;   in Loop: Header=BB0_47 Depth=4
	s_or_b32 exec_lo, exec_lo, s39
	s_add_co_i32 s38, s38, 1
	v_add_nc_u64_e32 v[12:13], s[24:25], v[12:13]
	v_cmp_ge_i32_e64 s2, s38, v3
	v_add_nc_u32_e32 v27, s6, v27
	s_or_b32 s37, s2, s37
	s_delay_alu instid0(SALU_CYCLE_1)
	s_and_not1_b32 exec_lo, exec_lo, s37
	s_cbranch_execz .LBB0_42
.LBB0_47:                               ;   Parent Loop BB0_12 Depth=1
                                        ;     Parent Loop BB0_28 Depth=2
                                        ;       Parent Loop BB0_44 Depth=3
                                        ; =>      This Loop Header: Depth=4
                                        ;           Child Loop BB0_49 Depth 5
	s_and_saveexec_b32 s39, vcc_lo
	s_cbranch_execz .LBB0_46
; %bb.48:                               ;   in Loop: Header=BB0_47 Depth=4
	v_mov_b64_e32 v[18:19], v[12:13]
	s_mov_b32 s50, 0
	s_mov_b32 s51, 0
.LBB0_49:                               ;   Parent Loop BB0_12 Depth=1
                                        ;     Parent Loop BB0_28 Depth=2
                                        ;       Parent Loop BB0_44 Depth=3
                                        ;         Parent Loop BB0_47 Depth=4
                                        ; =>        This Inner Loop Header: Depth=5
	global_load_b64 v[28:29], v[18:19], off
	s_wait_xcnt 0x0
	v_add_nc_u64_e32 v[18:19], s[26:27], v[18:19]
	s_wait_loadcnt 0x0
	v_cmp_gt_f64_e64 s2, v[28:29], v[10:11]
	v_cmp_u_f64_e64 s3, v[28:29], v[28:29]
	s_or_b32 s2, s2, s3
	s_delay_alu instid0(SALU_CYCLE_1) | instskip(SKIP_3) | instid1(VALU_DEP_3)
	v_dual_add_nc_u32 v30, s51, v27 :: v_dual_cndmask_b32 v11, v11, v29, s2
	s_add_co_i32 s51, s51, 1
	v_cndmask_b32_e64 v10, v10, v28, s2
	v_cmp_ge_i32_e64 s4, s51, v21
	v_dual_ashrrev_i32 v31, 31, v30 :: v_dual_cndmask_b32 v14, v14, v30, s2
	s_or_b32 s50, s4, s50
	s_delay_alu instid0(VALU_DEP_1)
	v_cndmask_b32_e64 v15, v15, v31, s2
	s_and_not1_b32 exec_lo, exec_lo, s50
	s_cbranch_execnz .LBB0_49
; %bb.50:                               ;   in Loop: Header=BB0_47 Depth=4
	s_or_b32 exec_lo, exec_lo, s50
	s_branch .LBB0_46
.LBB0_51:
	s_endpgm
.LBB0_52:
                                        ; implicit-def: $sgpr16_sgpr17
	s_branch .LBB0_2
.LBB0_53:
                                        ; implicit-def: $sgpr20_sgpr21
	s_branch .LBB0_5
.LBB0_54:
                                        ; implicit-def: $sgpr22_sgpr23
	s_load_b32 s7, s[0:1], 0x64
	s_branch .LBB0_8
	.section	.rodata,"a",@progbits
	.p2align	6, 0x0
	.amdhsa_kernel _ZN2at6native12_GLOBAL__N_115adaptivemaxpoolIdEEvPKT_PS3_Pliiiiiilllll
		.amdhsa_group_segment_fixed_size 0
		.amdhsa_private_segment_fixed_size 0
		.amdhsa_kernarg_size 344
		.amdhsa_user_sgpr_count 2
		.amdhsa_user_sgpr_dispatch_ptr 0
		.amdhsa_user_sgpr_queue_ptr 0
		.amdhsa_user_sgpr_kernarg_segment_ptr 1
		.amdhsa_user_sgpr_dispatch_id 0
		.amdhsa_user_sgpr_kernarg_preload_length 0
		.amdhsa_user_sgpr_kernarg_preload_offset 0
		.amdhsa_user_sgpr_private_segment_size 0
		.amdhsa_wavefront_size32 1
		.amdhsa_uses_dynamic_stack 0
		.amdhsa_enable_private_segment 0
		.amdhsa_system_sgpr_workgroup_id_x 1
		.amdhsa_system_sgpr_workgroup_id_y 1
		.amdhsa_system_sgpr_workgroup_id_z 0
		.amdhsa_system_sgpr_workgroup_info 0
		.amdhsa_system_vgpr_workitem_id 1
		.amdhsa_next_free_vgpr 34
		.amdhsa_next_free_sgpr 62
		.amdhsa_named_barrier_count 0
		.amdhsa_reserve_vcc 1
		.amdhsa_float_round_mode_32 0
		.amdhsa_float_round_mode_16_64 0
		.amdhsa_float_denorm_mode_32 3
		.amdhsa_float_denorm_mode_16_64 3
		.amdhsa_fp16_overflow 0
		.amdhsa_memory_ordered 1
		.amdhsa_forward_progress 1
		.amdhsa_inst_pref_size 58
		.amdhsa_round_robin_scheduling 0
		.amdhsa_exception_fp_ieee_invalid_op 0
		.amdhsa_exception_fp_denorm_src 0
		.amdhsa_exception_fp_ieee_div_zero 0
		.amdhsa_exception_fp_ieee_overflow 0
		.amdhsa_exception_fp_ieee_underflow 0
		.amdhsa_exception_fp_ieee_inexact 0
		.amdhsa_exception_int_div_zero 0
	.end_amdhsa_kernel
	.section	.text._ZN2at6native12_GLOBAL__N_115adaptivemaxpoolIdEEvPKT_PS3_Pliiiiiilllll,"axG",@progbits,_ZN2at6native12_GLOBAL__N_115adaptivemaxpoolIdEEvPKT_PS3_Pliiiiiilllll,comdat
.Lfunc_end0:
	.size	_ZN2at6native12_GLOBAL__N_115adaptivemaxpoolIdEEvPKT_PS3_Pliiiiiilllll, .Lfunc_end0-_ZN2at6native12_GLOBAL__N_115adaptivemaxpoolIdEEvPKT_PS3_Pliiiiiilllll
                                        ; -- End function
	.set _ZN2at6native12_GLOBAL__N_115adaptivemaxpoolIdEEvPKT_PS3_Pliiiiiilllll.num_vgpr, 34
	.set _ZN2at6native12_GLOBAL__N_115adaptivemaxpoolIdEEvPKT_PS3_Pliiiiiilllll.num_agpr, 0
	.set _ZN2at6native12_GLOBAL__N_115adaptivemaxpoolIdEEvPKT_PS3_Pliiiiiilllll.numbered_sgpr, 62
	.set _ZN2at6native12_GLOBAL__N_115adaptivemaxpoolIdEEvPKT_PS3_Pliiiiiilllll.num_named_barrier, 0
	.set _ZN2at6native12_GLOBAL__N_115adaptivemaxpoolIdEEvPKT_PS3_Pliiiiiilllll.private_seg_size, 0
	.set _ZN2at6native12_GLOBAL__N_115adaptivemaxpoolIdEEvPKT_PS3_Pliiiiiilllll.uses_vcc, 1
	.set _ZN2at6native12_GLOBAL__N_115adaptivemaxpoolIdEEvPKT_PS3_Pliiiiiilllll.uses_flat_scratch, 0
	.set _ZN2at6native12_GLOBAL__N_115adaptivemaxpoolIdEEvPKT_PS3_Pliiiiiilllll.has_dyn_sized_stack, 0
	.set _ZN2at6native12_GLOBAL__N_115adaptivemaxpoolIdEEvPKT_PS3_Pliiiiiilllll.has_recursion, 0
	.set _ZN2at6native12_GLOBAL__N_115adaptivemaxpoolIdEEvPKT_PS3_Pliiiiiilllll.has_indirect_call, 0
	.section	.AMDGPU.csdata,"",@progbits
; Kernel info:
; codeLenInByte = 7332
; TotalNumSgprs: 64
; NumVgprs: 34
; ScratchSize: 0
; MemoryBound: 0
; FloatMode: 240
; IeeeMode: 1
; LDSByteSize: 0 bytes/workgroup (compile time only)
; SGPRBlocks: 0
; VGPRBlocks: 2
; NumSGPRsForWavesPerEU: 64
; NumVGPRsForWavesPerEU: 34
; NamedBarCnt: 0
; Occupancy: 16
; WaveLimiterHint : 0
; COMPUTE_PGM_RSRC2:SCRATCH_EN: 0
; COMPUTE_PGM_RSRC2:USER_SGPR: 2
; COMPUTE_PGM_RSRC2:TRAP_HANDLER: 0
; COMPUTE_PGM_RSRC2:TGID_X_EN: 1
; COMPUTE_PGM_RSRC2:TGID_Y_EN: 1
; COMPUTE_PGM_RSRC2:TGID_Z_EN: 0
; COMPUTE_PGM_RSRC2:TIDIG_COMP_CNT: 1
	.section	.text._ZN2at6native12_GLOBAL__N_115adaptivemaxpoolIfEEvPKT_PS3_Pliiiiiilllll,"axG",@progbits,_ZN2at6native12_GLOBAL__N_115adaptivemaxpoolIfEEvPKT_PS3_Pliiiiiilllll,comdat
	.globl	_ZN2at6native12_GLOBAL__N_115adaptivemaxpoolIfEEvPKT_PS3_Pliiiiiilllll ; -- Begin function _ZN2at6native12_GLOBAL__N_115adaptivemaxpoolIfEEvPKT_PS3_Pliiiiiilllll
	.p2align	8
	.type	_ZN2at6native12_GLOBAL__N_115adaptivemaxpoolIfEEvPKT_PS3_Pliiiiiilllll,@function
_ZN2at6native12_GLOBAL__N_115adaptivemaxpoolIfEEvPKT_PS3_Pliiiiiilllll: ; @_ZN2at6native12_GLOBAL__N_115adaptivemaxpoolIfEEvPKT_PS3_Pliiiiiilllll
; %bb.0:
	s_clause 0x2
	s_load_b64 s[2:3], s[0:1], 0x50
	s_load_b128 s[4:7], s[0:1], 0x18
	s_load_b64 s[8:9], s[0:1], 0x28
	s_bfe_u32 s10, ttmp6, 0x4000c
	s_and_b32 s11, ttmp6, 15
	s_add_co_i32 s10, s10, 1
	s_getreg_b32 s19, hwreg(HW_REG_IB_STS2, 6, 4)
	s_mul_i32 s10, ttmp9, s10
	s_mov_b32 s13, 0
	s_add_co_i32 s11, s11, s10
	s_cmp_eq_u32 s19, 0
	s_cselect_b32 s12, ttmp9, s11
	s_wait_kmcnt 0x0
	s_add_nc_u64 s[2:3], s[2:3], s[12:13]
	s_ashr_i32 s11, s7, 31
	s_mov_b32 s10, s7
	s_delay_alu instid0(SALU_CYCLE_1) | instskip(NEXT) | instid1(SALU_CYCLE_1)
	s_or_b64 s[14:15], s[2:3], s[10:11]
	s_and_b64 s[14:15], s[14:15], 0xffffffff00000000
	s_delay_alu instid0(SALU_CYCLE_1)
	s_cmp_lg_u64 s[14:15], 0
	s_cbranch_scc0 .LBB1_52
; %bb.1:
	s_ashr_i32 s14, s11, 31
	s_delay_alu instid0(SALU_CYCLE_1) | instskip(NEXT) | instid1(SALU_CYCLE_1)
	s_mov_b32 s15, s14
	s_add_nc_u64 s[16:17], s[10:11], s[14:15]
	s_delay_alu instid0(SALU_CYCLE_1) | instskip(NEXT) | instid1(SALU_CYCLE_1)
	s_xor_b64 s[16:17], s[16:17], s[14:15]
	s_cvt_f32_u32 s7, s16
	s_cvt_f32_u32 s12, s17
	s_sub_nc_u64 s[22:23], 0, s[16:17]
	s_delay_alu instid0(SALU_CYCLE_2) | instskip(NEXT) | instid1(SALU_CYCLE_3)
	s_fmamk_f32 s7, s12, 0x4f800000, s7
	v_s_rcp_f32 s7, s7
	s_delay_alu instid0(TRANS32_DEP_1) | instskip(NEXT) | instid1(SALU_CYCLE_3)
	s_mul_f32 s7, s7, 0x5f7ffffc
	s_mul_f32 s12, s7, 0x2f800000
	s_delay_alu instid0(SALU_CYCLE_3) | instskip(NEXT) | instid1(SALU_CYCLE_3)
	s_trunc_f32 s12, s12
	s_fmamk_f32 s7, s12, 0xcf800000, s7
	s_cvt_u32_f32 s21, s12
	s_delay_alu instid0(SALU_CYCLE_2) | instskip(NEXT) | instid1(SALU_CYCLE_3)
	s_cvt_u32_f32 s20, s7
	s_mul_u64 s[24:25], s[22:23], s[20:21]
	s_delay_alu instid0(SALU_CYCLE_1)
	s_mul_hi_u32 s27, s20, s25
	s_mul_i32 s26, s20, s25
	s_mul_hi_u32 s12, s20, s24
	s_mul_i32 s18, s21, s24
	s_add_nc_u64 s[26:27], s[12:13], s[26:27]
	s_mul_hi_u32 s7, s21, s24
	s_mul_hi_u32 s28, s21, s25
	s_add_co_u32 s12, s26, s18
	s_add_co_ci_u32 s12, s27, s7
	s_mul_i32 s24, s21, s25
	s_add_co_ci_u32 s25, s28, 0
	s_delay_alu instid0(SALU_CYCLE_1) | instskip(NEXT) | instid1(SALU_CYCLE_1)
	s_add_nc_u64 s[24:25], s[12:13], s[24:25]
	s_add_co_u32 s20, s20, s24
	s_cselect_b32 s7, -1, 0
	s_delay_alu instid0(SALU_CYCLE_1) | instskip(SKIP_1) | instid1(SALU_CYCLE_1)
	s_cmp_lg_u32 s7, 0
	s_add_co_ci_u32 s21, s21, s25
	s_mul_u64 s[22:23], s[22:23], s[20:21]
	s_delay_alu instid0(SALU_CYCLE_1)
	s_mul_hi_u32 s25, s20, s23
	s_mul_i32 s24, s20, s23
	s_mul_hi_u32 s12, s20, s22
	s_mul_i32 s18, s21, s22
	s_add_nc_u64 s[24:25], s[12:13], s[24:25]
	s_mul_hi_u32 s7, s21, s22
	s_mul_hi_u32 s26, s21, s23
	s_add_co_u32 s12, s24, s18
	s_add_co_ci_u32 s12, s25, s7
	s_mul_i32 s22, s21, s23
	s_add_co_ci_u32 s23, s26, 0
	s_delay_alu instid0(SALU_CYCLE_1) | instskip(NEXT) | instid1(SALU_CYCLE_1)
	s_add_nc_u64 s[22:23], s[12:13], s[22:23]
	s_add_co_u32 s7, s20, s22
	s_cselect_b32 s12, -1, 0
	s_delay_alu instid0(SALU_CYCLE_1) | instskip(SKIP_2) | instid1(SALU_CYCLE_1)
	s_cmp_lg_u32 s12, 0
	s_add_co_ci_u32 s18, s21, s23
	s_ashr_i32 s20, s3, 31
	s_mov_b32 s21, s20
	s_delay_alu instid0(SALU_CYCLE_1) | instskip(NEXT) | instid1(SALU_CYCLE_1)
	s_add_nc_u64 s[22:23], s[2:3], s[20:21]
	s_xor_b64 s[22:23], s[22:23], s[20:21]
	s_delay_alu instid0(SALU_CYCLE_1)
	s_mul_hi_u32 s25, s22, s18
	s_mul_i32 s24, s22, s18
	s_mul_hi_u32 s12, s22, s7
	s_mul_hi_u32 s28, s23, s7
	s_mul_i32 s7, s23, s7
	s_add_nc_u64 s[24:25], s[12:13], s[24:25]
	s_mul_hi_u32 s27, s23, s18
	s_add_co_u32 s7, s24, s7
	s_add_co_ci_u32 s12, s25, s28
	s_mul_i32 s26, s23, s18
	s_add_co_ci_u32 s27, s27, 0
	s_delay_alu instid0(SALU_CYCLE_1) | instskip(NEXT) | instid1(SALU_CYCLE_1)
	s_add_nc_u64 s[24:25], s[12:13], s[26:27]
	s_and_b64 s[26:27], s[24:25], 0xffffffff00000000
	s_delay_alu instid0(SALU_CYCLE_1) | instskip(NEXT) | instid1(SALU_CYCLE_1)
	s_or_b32 s26, s26, s24
	s_mul_u64 s[24:25], s[16:17], s[26:27]
	s_add_nc_u64 s[28:29], s[26:27], 1
	s_sub_co_u32 s7, s22, s24
	s_cselect_b32 s12, -1, 0
	s_sub_co_i32 s18, s23, s25
	s_cmp_lg_u32 s12, 0
	s_add_nc_u64 s[30:31], s[26:27], 2
	s_sub_co_ci_u32 s18, s18, s17
	s_sub_co_u32 s22, s7, s16
	s_cselect_b32 s24, -1, 0
	s_delay_alu instid0(SALU_CYCLE_1) | instskip(SKIP_1) | instid1(SALU_CYCLE_1)
	s_cmp_lg_u32 s24, 0
	s_sub_co_ci_u32 s18, s18, 0
	s_cmp_ge_u32 s18, s17
	s_cselect_b32 s24, -1, 0
	s_cmp_ge_u32 s22, s16
	s_cselect_b32 s22, -1, 0
	s_cmp_eq_u32 s18, s17
	s_cselect_b32 s18, s22, s24
	s_delay_alu instid0(SALU_CYCLE_1) | instskip(SKIP_4) | instid1(SALU_CYCLE_1)
	s_cmp_lg_u32 s18, 0
	s_cselect_b32 s18, s30, s28
	s_cselect_b32 s22, s31, s29
	s_cmp_lg_u32 s12, 0
	s_sub_co_ci_u32 s12, s23, s25
	s_cmp_ge_u32 s12, s17
	s_cselect_b32 s23, -1, 0
	s_cmp_ge_u32 s7, s16
	s_cselect_b32 s7, -1, 0
	s_cmp_eq_u32 s12, s17
	s_cselect_b32 s7, s7, s23
	s_delay_alu instid0(SALU_CYCLE_1) | instskip(SKIP_3) | instid1(SALU_CYCLE_1)
	s_cmp_lg_u32 s7, 0
	s_cselect_b32 s17, s22, s27
	s_cselect_b32 s16, s18, s26
	s_xor_b64 s[14:15], s[20:21], s[14:15]
	s_xor_b64 s[16:17], s[16:17], s[14:15]
	s_delay_alu instid0(SALU_CYCLE_1)
	s_sub_nc_u64 s[16:17], s[16:17], s[14:15]
	s_and_not1_b32 vcc_lo, exec_lo, s13
	s_cbranch_vccnz .LBB1_3
.LBB1_2:
	v_cvt_f32_u32_e32 v1, s10
	s_sub_co_i32 s12, 0, s10
	s_mov_b32 s17, 0
	s_delay_alu instid0(VALU_DEP_1) | instskip(SKIP_1) | instid1(TRANS32_DEP_1)
	v_rcp_iflag_f32_e32 v1, v1
	v_nop
	v_mul_f32_e32 v1, 0x4f7ffffe, v1
	s_delay_alu instid0(VALU_DEP_1) | instskip(NEXT) | instid1(VALU_DEP_1)
	v_cvt_u32_f32_e32 v1, v1
	v_readfirstlane_b32 s7, v1
	s_mul_i32 s12, s12, s7
	s_delay_alu instid0(SALU_CYCLE_1) | instskip(NEXT) | instid1(SALU_CYCLE_1)
	s_mul_hi_u32 s12, s7, s12
	s_add_co_i32 s7, s7, s12
	s_delay_alu instid0(SALU_CYCLE_1) | instskip(NEXT) | instid1(SALU_CYCLE_1)
	s_mul_hi_u32 s7, s2, s7
	s_mul_i32 s12, s7, s10
	s_add_co_i32 s13, s7, 1
	s_sub_co_i32 s12, s2, s12
	s_delay_alu instid0(SALU_CYCLE_1)
	s_sub_co_i32 s14, s12, s10
	s_cmp_ge_u32 s12, s10
	s_cselect_b32 s7, s13, s7
	s_cselect_b32 s12, s14, s12
	s_add_co_i32 s13, s7, 1
	s_cmp_ge_u32 s12, s10
	s_cselect_b32 s16, s13, s7
.LBB1_3:
	s_abs_i32 s7, s10
	s_mov_b32 s25, 0
	s_cvt_f32_u32 s12, s7
	s_sub_co_i32 s15, 0, s7
	s_delay_alu instid0(SALU_CYCLE_2) | instskip(SKIP_1) | instid1(TRANS32_DEP_1)
	v_rcp_iflag_f32_e32 v1, s12
	v_nop
	v_readfirstlane_b32 s12, v1
	s_mul_f32 s12, s12, 0x4f7ffffe
	s_delay_alu instid0(SALU_CYCLE_3) | instskip(SKIP_1) | instid1(SALU_CYCLE_1)
	s_cvt_u32_f32 s14, s12
	s_mul_u64 s[12:13], s[16:17], s[10:11]
	s_sub_nc_u64 s[12:13], s[2:3], s[12:13]
	s_delay_alu instid0(SALU_CYCLE_1)
	s_mul_i32 s15, s15, s14
	s_abs_i32 s18, s12
	s_mul_hi_u32 s15, s14, s15
	s_xor_b32 s20, s12, s10
	s_add_co_i32 s14, s14, s15
	s_ashr_i32 s15, s4, 31
	s_mul_hi_u32 s14, s18, s14
	s_ashr_i32 s20, s20, 31
	s_mul_i32 s21, s14, s7
	s_delay_alu instid0(SALU_CYCLE_1)
	s_sub_co_i32 s18, s18, s21
	s_add_co_i32 s21, s14, 1
	s_sub_co_i32 s22, s18, s7
	s_cmp_ge_u32 s18, s7
	s_cselect_b32 s14, s21, s14
	s_cselect_b32 s18, s22, s18
	s_add_co_i32 s21, s14, 1
	s_cmp_ge_u32 s18, s7
	s_cselect_b32 s7, s21, s14
	s_mov_b32 s14, s4
	s_xor_b32 s7, s7, s20
	s_delay_alu instid0(SALU_CYCLE_1) | instskip(NEXT) | instid1(SALU_CYCLE_1)
	s_sub_co_i32 s18, s7, s20
	s_mul_i32 s7, s18, s10
	s_delay_alu instid0(SALU_CYCLE_1) | instskip(NEXT) | instid1(SALU_CYCLE_1)
	s_sub_co_i32 s20, s12, s7
	s_ashr_i32 s21, s20, 31
	s_delay_alu instid0(SALU_CYCLE_1) | instskip(NEXT) | instid1(SALU_CYCLE_1)
	s_mul_u64 s[22:23], s[20:21], s[14:15]
	s_or_b64 s[20:21], s[22:23], s[10:11]
	s_delay_alu instid0(SALU_CYCLE_1) | instskip(NEXT) | instid1(SALU_CYCLE_1)
	s_and_b64 s[20:21], s[20:21], 0xffffffff00000000
	s_cmp_lg_u64 s[20:21], 0
	s_cbranch_scc0 .LBB1_53
; %bb.4:
	s_ashr_i32 s20, s11, 31
	s_delay_alu instid0(SALU_CYCLE_1) | instskip(NEXT) | instid1(SALU_CYCLE_1)
	s_mov_b32 s21, s20
	s_add_nc_u64 s[26:27], s[10:11], s[20:21]
	s_delay_alu instid0(SALU_CYCLE_1) | instskip(NEXT) | instid1(SALU_CYCLE_1)
	s_xor_b64 s[26:27], s[26:27], s[20:21]
	s_cvt_f32_u32 s7, s26
	s_cvt_f32_u32 s24, s27
	s_sub_nc_u64 s[30:31], 0, s[26:27]
	s_delay_alu instid0(SALU_CYCLE_2) | instskip(NEXT) | instid1(SALU_CYCLE_3)
	s_fmamk_f32 s7, s24, 0x4f800000, s7
	v_s_rcp_f32 s7, s7
	s_delay_alu instid0(TRANS32_DEP_1) | instskip(NEXT) | instid1(SALU_CYCLE_3)
	s_mul_f32 s7, s7, 0x5f7ffffc
	s_mul_f32 s24, s7, 0x2f800000
	s_delay_alu instid0(SALU_CYCLE_3) | instskip(NEXT) | instid1(SALU_CYCLE_3)
	s_trunc_f32 s24, s24
	s_fmamk_f32 s7, s24, 0xcf800000, s7
	s_cvt_u32_f32 s29, s24
	s_delay_alu instid0(SALU_CYCLE_2) | instskip(NEXT) | instid1(SALU_CYCLE_3)
	s_cvt_u32_f32 s28, s7
	s_mul_u64 s[34:35], s[30:31], s[28:29]
	s_delay_alu instid0(SALU_CYCLE_1)
	s_mul_hi_u32 s37, s28, s35
	s_mul_i32 s36, s28, s35
	s_mul_hi_u32 s24, s28, s34
	s_mul_i32 s33, s29, s34
	s_add_nc_u64 s[36:37], s[24:25], s[36:37]
	s_mul_hi_u32 s7, s29, s34
	s_mul_hi_u32 s38, s29, s35
	s_add_co_u32 s24, s36, s33
	s_add_co_ci_u32 s24, s37, s7
	s_mul_i32 s34, s29, s35
	s_add_co_ci_u32 s35, s38, 0
	s_delay_alu instid0(SALU_CYCLE_1) | instskip(NEXT) | instid1(SALU_CYCLE_1)
	s_add_nc_u64 s[34:35], s[24:25], s[34:35]
	s_add_co_u32 s28, s28, s34
	s_cselect_b32 s7, -1, 0
	s_delay_alu instid0(SALU_CYCLE_1) | instskip(SKIP_1) | instid1(SALU_CYCLE_1)
	s_cmp_lg_u32 s7, 0
	s_add_co_ci_u32 s29, s29, s35
	s_mul_u64 s[30:31], s[30:31], s[28:29]
	s_delay_alu instid0(SALU_CYCLE_1)
	s_mul_hi_u32 s35, s28, s31
	s_mul_i32 s34, s28, s31
	s_mul_hi_u32 s24, s28, s30
	s_mul_i32 s33, s29, s30
	s_add_nc_u64 s[34:35], s[24:25], s[34:35]
	s_mul_hi_u32 s7, s29, s30
	s_mul_hi_u32 s36, s29, s31
	s_add_co_u32 s24, s34, s33
	s_add_co_ci_u32 s24, s35, s7
	s_mul_i32 s30, s29, s31
	s_add_co_ci_u32 s31, s36, 0
	s_delay_alu instid0(SALU_CYCLE_1) | instskip(NEXT) | instid1(SALU_CYCLE_1)
	s_add_nc_u64 s[30:31], s[24:25], s[30:31]
	s_add_co_u32 s7, s28, s30
	s_cselect_b32 s24, -1, 0
	s_delay_alu instid0(SALU_CYCLE_1) | instskip(SKIP_2) | instid1(SALU_CYCLE_1)
	s_cmp_lg_u32 s24, 0
	s_add_co_ci_u32 s33, s29, s31
	s_ashr_i32 s28, s23, 31
	s_mov_b32 s29, s28
	s_delay_alu instid0(SALU_CYCLE_1) | instskip(NEXT) | instid1(SALU_CYCLE_1)
	s_add_nc_u64 s[30:31], s[22:23], s[28:29]
	s_xor_b64 s[30:31], s[30:31], s[28:29]
	s_delay_alu instid0(SALU_CYCLE_1)
	s_mul_hi_u32 s35, s30, s33
	s_mul_i32 s34, s30, s33
	s_mul_hi_u32 s24, s30, s7
	s_mul_hi_u32 s37, s31, s7
	s_mul_i32 s7, s31, s7
	s_add_nc_u64 s[34:35], s[24:25], s[34:35]
	s_mul_hi_u32 s23, s31, s33
	s_add_co_u32 s7, s34, s7
	s_add_co_ci_u32 s24, s35, s37
	s_mul_i32 s36, s31, s33
	s_add_co_ci_u32 s37, s23, 0
	s_delay_alu instid0(SALU_CYCLE_1) | instskip(NEXT) | instid1(SALU_CYCLE_1)
	s_add_nc_u64 s[34:35], s[24:25], s[36:37]
	s_and_b64 s[36:37], s[34:35], 0xffffffff00000000
	s_delay_alu instid0(SALU_CYCLE_1) | instskip(NEXT) | instid1(SALU_CYCLE_1)
	s_or_b32 s36, s36, s34
	s_mul_u64 s[34:35], s[26:27], s[36:37]
	s_add_nc_u64 s[38:39], s[36:37], 1
	s_sub_co_u32 s7, s30, s34
	s_cselect_b32 s23, -1, 0
	s_sub_co_i32 s24, s31, s35
	s_cmp_lg_u32 s23, 0
	s_add_nc_u64 s[40:41], s[36:37], 2
	s_sub_co_ci_u32 s24, s24, s27
	s_sub_co_u32 s30, s7, s26
	s_cselect_b32 s33, -1, 0
	s_delay_alu instid0(SALU_CYCLE_1) | instskip(SKIP_1) | instid1(SALU_CYCLE_1)
	s_cmp_lg_u32 s33, 0
	s_sub_co_ci_u32 s24, s24, 0
	s_cmp_ge_u32 s24, s27
	s_cselect_b32 s33, -1, 0
	s_cmp_ge_u32 s30, s26
	s_cselect_b32 s30, -1, 0
	s_cmp_eq_u32 s24, s27
	s_cselect_b32 s24, s30, s33
	s_delay_alu instid0(SALU_CYCLE_1) | instskip(SKIP_4) | instid1(SALU_CYCLE_1)
	s_cmp_lg_u32 s24, 0
	s_cselect_b32 s24, s40, s38
	s_cselect_b32 s30, s41, s39
	s_cmp_lg_u32 s23, 0
	s_sub_co_ci_u32 s23, s31, s35
	s_cmp_ge_u32 s23, s27
	s_cselect_b32 s31, -1, 0
	s_cmp_ge_u32 s7, s26
	s_cselect_b32 s7, -1, 0
	s_cmp_eq_u32 s23, s27
	s_cselect_b32 s7, s7, s31
	s_delay_alu instid0(SALU_CYCLE_1) | instskip(SKIP_3) | instid1(SALU_CYCLE_1)
	s_cmp_lg_u32 s7, 0
	s_cselect_b32 s27, s30, s37
	s_cselect_b32 s26, s24, s36
	s_xor_b64 s[20:21], s[28:29], s[20:21]
	s_xor_b64 s[26:27], s[26:27], s[20:21]
	s_delay_alu instid0(SALU_CYCLE_1)
	s_sub_nc_u64 s[20:21], s[26:27], s[20:21]
	s_and_not1_b32 vcc_lo, exec_lo, s25
	s_cbranch_vccnz .LBB1_6
.LBB1_5:
	v_cvt_f32_u32_e32 v1, s10
	s_sub_co_i32 s20, 0, s10
	s_delay_alu instid0(VALU_DEP_1) | instskip(SKIP_1) | instid1(TRANS32_DEP_1)
	v_rcp_iflag_f32_e32 v1, v1
	v_nop
	v_mul_f32_e32 v1, 0x4f7ffffe, v1
	s_delay_alu instid0(VALU_DEP_1) | instskip(NEXT) | instid1(VALU_DEP_1)
	v_cvt_u32_f32_e32 v1, v1
	v_readfirstlane_b32 s7, v1
	s_mul_i32 s20, s20, s7
	s_delay_alu instid0(SALU_CYCLE_1) | instskip(NEXT) | instid1(SALU_CYCLE_1)
	s_mul_hi_u32 s20, s7, s20
	s_add_co_i32 s7, s7, s20
	s_delay_alu instid0(SALU_CYCLE_1) | instskip(NEXT) | instid1(SALU_CYCLE_1)
	s_mul_hi_u32 s7, s22, s7
	s_mul_i32 s20, s7, s10
	s_add_co_i32 s21, s7, 1
	s_sub_co_i32 s20, s22, s20
	s_delay_alu instid0(SALU_CYCLE_1)
	s_sub_co_i32 s22, s20, s10
	s_cmp_ge_u32 s20, s10
	s_cselect_b32 s7, s21, s7
	s_cselect_b32 s20, s22, s20
	s_add_co_i32 s22, s7, 1
	s_cmp_ge_u32 s20, s10
	s_mov_b32 s21, 0
	s_cselect_b32 s20, s22, s7
.LBB1_6:
	s_add_nc_u64 s[12:13], s[12:13], 1
	s_delay_alu instid0(SALU_CYCLE_1) | instskip(NEXT) | instid1(SALU_CYCLE_1)
	s_mul_u64 s[12:13], s[12:13], s[14:15]
	s_add_nc_u64 s[12:13], s[12:13], -1
	s_delay_alu instid0(SALU_CYCLE_1) | instskip(NEXT) | instid1(SALU_CYCLE_1)
	s_or_b64 s[22:23], s[12:13], s[10:11]
	s_and_b64 s[22:23], s[22:23], 0xffffffff00000000
	s_delay_alu instid0(SALU_CYCLE_1)
	s_cmp_lg_u64 s[22:23], 0
	s_cbranch_scc0 .LBB1_54
; %bb.7:
	s_ashr_i32 s22, s11, 31
	s_delay_alu instid0(SALU_CYCLE_1) | instskip(NEXT) | instid1(SALU_CYCLE_1)
	s_mov_b32 s23, s22
	s_add_nc_u64 s[24:25], s[10:11], s[22:23]
	s_delay_alu instid0(SALU_CYCLE_1) | instskip(SKIP_4) | instid1(SALU_CYCLE_2)
	s_xor_b64 s[26:27], s[24:25], s[22:23]
	s_mov_b32 s25, 0
	s_cvt_f32_u32 s7, s26
	s_cvt_f32_u32 s11, s27
	s_sub_nc_u64 s[30:31], 0, s[26:27]
	s_fmamk_f32 s7, s11, 0x4f800000, s7
	s_delay_alu instid0(SALU_CYCLE_3) | instskip(NEXT) | instid1(TRANS32_DEP_1)
	v_s_rcp_f32 s7, s7
	s_mul_f32 s7, s7, 0x5f7ffffc
	s_delay_alu instid0(SALU_CYCLE_3) | instskip(NEXT) | instid1(SALU_CYCLE_3)
	s_mul_f32 s11, s7, 0x2f800000
	s_trunc_f32 s11, s11
	s_delay_alu instid0(SALU_CYCLE_3) | instskip(SKIP_1) | instid1(SALU_CYCLE_2)
	s_fmamk_f32 s7, s11, 0xcf800000, s7
	s_cvt_u32_f32 s29, s11
	s_cvt_u32_f32 s28, s7
	s_delay_alu instid0(SALU_CYCLE_3) | instskip(NEXT) | instid1(SALU_CYCLE_1)
	s_mul_u64 s[34:35], s[30:31], s[28:29]
	s_mul_hi_u32 s37, s28, s35
	s_mul_i32 s36, s28, s35
	s_mul_hi_u32 s24, s28, s34
	s_mul_i32 s11, s29, s34
	s_add_nc_u64 s[36:37], s[24:25], s[36:37]
	s_mul_hi_u32 s7, s29, s34
	s_mul_hi_u32 s33, s29, s35
	s_add_co_u32 s11, s36, s11
	s_add_co_ci_u32 s24, s37, s7
	s_mul_i32 s34, s29, s35
	s_add_co_ci_u32 s35, s33, 0
	s_delay_alu instid0(SALU_CYCLE_1) | instskip(NEXT) | instid1(SALU_CYCLE_1)
	s_add_nc_u64 s[34:35], s[24:25], s[34:35]
	s_add_co_u32 s28, s28, s34
	s_cselect_b32 s7, -1, 0
	s_delay_alu instid0(SALU_CYCLE_1) | instskip(SKIP_1) | instid1(SALU_CYCLE_1)
	s_cmp_lg_u32 s7, 0
	s_add_co_ci_u32 s29, s29, s35
	s_mul_u64 s[30:31], s[30:31], s[28:29]
	s_delay_alu instid0(SALU_CYCLE_1)
	s_mul_hi_u32 s35, s28, s31
	s_mul_i32 s34, s28, s31
	s_mul_hi_u32 s24, s28, s30
	s_mul_i32 s11, s29, s30
	s_add_nc_u64 s[34:35], s[24:25], s[34:35]
	s_mul_hi_u32 s7, s29, s30
	s_mul_hi_u32 s33, s29, s31
	s_add_co_u32 s11, s34, s11
	s_add_co_ci_u32 s24, s35, s7
	s_mul_i32 s30, s29, s31
	s_add_co_ci_u32 s31, s33, 0
	s_delay_alu instid0(SALU_CYCLE_1) | instskip(NEXT) | instid1(SALU_CYCLE_1)
	s_add_nc_u64 s[30:31], s[24:25], s[30:31]
	s_add_co_u32 s7, s28, s30
	s_cselect_b32 s11, -1, 0
	s_delay_alu instid0(SALU_CYCLE_1) | instskip(SKIP_2) | instid1(SALU_CYCLE_1)
	s_cmp_lg_u32 s11, 0
	s_add_co_ci_u32 s11, s29, s31
	s_ashr_i32 s28, s13, 31
	s_mov_b32 s29, s28
	s_delay_alu instid0(SALU_CYCLE_1) | instskip(NEXT) | instid1(SALU_CYCLE_1)
	s_add_nc_u64 s[30:31], s[12:13], s[28:29]
	s_xor_b64 s[30:31], s[30:31], s[28:29]
	s_delay_alu instid0(SALU_CYCLE_1)
	s_mul_hi_u32 s35, s30, s11
	s_mul_i32 s34, s30, s11
	s_mul_hi_u32 s24, s30, s7
	s_mul_hi_u32 s33, s31, s7
	s_mul_i32 s7, s31, s7
	s_add_nc_u64 s[34:35], s[24:25], s[34:35]
	s_mul_hi_u32 s13, s31, s11
	s_add_co_u32 s7, s34, s7
	s_add_co_ci_u32 s24, s35, s33
	s_mul_i32 s36, s31, s11
	s_add_co_ci_u32 s37, s13, 0
	s_delay_alu instid0(SALU_CYCLE_1) | instskip(NEXT) | instid1(SALU_CYCLE_1)
	s_add_nc_u64 s[34:35], s[24:25], s[36:37]
	s_and_b64 s[36:37], s[34:35], 0xffffffff00000000
	s_delay_alu instid0(SALU_CYCLE_1) | instskip(NEXT) | instid1(SALU_CYCLE_1)
	s_or_b32 s36, s36, s34
	s_mul_u64 s[34:35], s[26:27], s[36:37]
	s_add_nc_u64 s[38:39], s[36:37], 1
	s_sub_co_u32 s7, s30, s34
	s_cselect_b32 s11, -1, 0
	s_sub_co_i32 s13, s31, s35
	s_cmp_lg_u32 s11, 0
	s_add_nc_u64 s[40:41], s[36:37], 2
	s_sub_co_ci_u32 s13, s13, s27
	s_sub_co_u32 s24, s7, s26
	s_cselect_b32 s30, -1, 0
	s_delay_alu instid0(SALU_CYCLE_1) | instskip(SKIP_1) | instid1(SALU_CYCLE_1)
	s_cmp_lg_u32 s30, 0
	s_sub_co_ci_u32 s13, s13, 0
	s_cmp_ge_u32 s13, s27
	s_cselect_b32 s30, -1, 0
	s_cmp_ge_u32 s24, s26
	s_cselect_b32 s24, -1, 0
	s_cmp_eq_u32 s13, s27
	s_cselect_b32 s13, s24, s30
	s_delay_alu instid0(SALU_CYCLE_1) | instskip(SKIP_4) | instid1(SALU_CYCLE_1)
	s_cmp_lg_u32 s13, 0
	s_cselect_b32 s13, s40, s38
	s_cselect_b32 s24, s41, s39
	s_cmp_lg_u32 s11, 0
	s_sub_co_ci_u32 s11, s31, s35
	s_cmp_ge_u32 s11, s27
	s_cselect_b32 s30, -1, 0
	s_cmp_ge_u32 s7, s26
	s_cselect_b32 s7, -1, 0
	s_cmp_eq_u32 s11, s27
	s_cselect_b32 s7, s7, s30
	s_delay_alu instid0(SALU_CYCLE_1) | instskip(SKIP_3) | instid1(SALU_CYCLE_1)
	s_cmp_lg_u32 s7, 0
	s_cselect_b32 s27, s24, s37
	s_cselect_b32 s26, s13, s36
	s_xor_b64 s[22:23], s[28:29], s[22:23]
	s_xor_b64 s[26:27], s[26:27], s[22:23]
	s_delay_alu instid0(SALU_CYCLE_1)
	s_sub_nc_u64 s[22:23], s[26:27], s[22:23]
	s_load_b32 s7, s[0:1], 0x64
	s_cbranch_execnz .LBB1_9
.LBB1_8:
	v_cvt_f32_u32_e32 v1, s10
	s_sub_co_i32 s13, 0, s10
	s_delay_alu instid0(VALU_DEP_1) | instskip(SKIP_1) | instid1(TRANS32_DEP_1)
	v_rcp_iflag_f32_e32 v1, v1
	v_nop
	v_mul_f32_e32 v1, 0x4f7ffffe, v1
	s_delay_alu instid0(VALU_DEP_1) | instskip(NEXT) | instid1(VALU_DEP_1)
	v_cvt_u32_f32_e32 v1, v1
	v_readfirstlane_b32 s11, v1
	s_mul_i32 s13, s13, s11
	s_delay_alu instid0(SALU_CYCLE_1) | instskip(NEXT) | instid1(SALU_CYCLE_1)
	s_mul_hi_u32 s13, s11, s13
	s_add_co_i32 s11, s11, s13
	s_delay_alu instid0(SALU_CYCLE_1) | instskip(NEXT) | instid1(SALU_CYCLE_1)
	s_mul_hi_u32 s11, s12, s11
	s_mul_i32 s13, s11, s10
	s_delay_alu instid0(SALU_CYCLE_1)
	s_sub_co_i32 s12, s12, s13
	s_add_co_i32 s13, s11, 1
	s_sub_co_i32 s22, s12, s10
	s_cmp_ge_u32 s12, s10
	s_cselect_b32 s11, s13, s11
	s_cselect_b32 s12, s22, s12
	s_add_co_i32 s13, s11, 1
	s_cmp_ge_u32 s12, s10
	s_cselect_b32 s22, s13, s11
.LBB1_9:
	s_bfe_u32 s10, ttmp6, 0x40010
	s_bfe_u32 s12, ttmp6, 0x40004
	s_add_co_i32 s10, s10, 1
	s_wait_kmcnt 0x0
	s_lshr_b32 s11, s7, 16
	s_mul_i32 s10, ttmp7, s10
	v_bfe_u32 v1, v0, 10, 10
	s_add_co_i32 s12, s12, s10
	s_cmp_eq_u32 s19, 0
	s_cselect_b32 s10, ttmp7, s12
	s_mov_b32 s12, exec_lo
	v_mad_u32 v2, s10, s11, v1
	s_mov_b32 s10, 0
	s_delay_alu instid0(VALU_DEP_1)
	v_cmpx_gt_i32_e64 s8, v2
	s_cbranch_execz .LBB1_51
; %bb.10:
	s_mov_b32 s19, s10
	s_ashr_i32 s13, s8, 31
	s_mul_u64 s[14:15], s[18:19], s[14:15]
	s_mov_b32 s12, s8
	s_add_nc_u64 s[24:25], s[20:21], s[14:15]
	s_ashr_i32 s15, s9, 31
	s_mov_b32 s14, s9
	s_sub_co_i32 s33, s22, s24
	s_mul_u64 s[22:23], s[14:15], s[12:13]
	s_add_co_i32 s33, s33, 1
	s_mul_u64 s[2:3], s[22:23], s[2:3]
	s_bfe_i64 s[26:27], s[16:17], 0x200000
	s_bfe_i64 s[28:29], s[24:25], 0x200000
	s_lshl_b64 s[22:23], s[2:3], 2
	s_lshl_b64 s[2:3], s[2:3], 3
	s_and_b32 s40, s7, 0xffff
	s_ashr_i32 s17, s5, 31
	s_ashr_i32 s7, s6, 31
	s_cmp_gt_i32 s33, 0
	v_cvt_f32_u32_e32 v3, s12
	s_cselect_b32 s41, -1, 0
	s_ashr_i32 s42, s8, 31
	v_and_b32_e32 v22, 0x3ff, v0
	s_add_co_i32 s16, s8, s42
	v_rcp_iflag_f32_e32 v3, v3
	s_xor_b32 s43, s16, s42
	s_clause 0x2
	s_load_b32 s46, s[0:1], 0x5c
	s_load_b128 s[36:39], s[0:1], 0x0
	s_load_b64 s[30:31], s[0:1], 0x10
	v_cvt_f32_u32_e32 v1, s43
	s_load_b256 s[48:55], s[0:1], 0x30
	s_wait_xcnt 0x0
	s_sub_co_i32 s0, 0, s43
	s_sub_co_i32 s1, 0, s8
	v_mul_f32_e32 v3, 0x4f7ffffe, v3
	v_rcp_iflag_f32_e32 v1, v1
	s_mul_i32 s45, s4, s18
	s_mov_b32 s16, s5
	s_add_co_i32 s45, s45, s20
	v_cvt_u32_f32_e32 v3, v3
	s_mov_b64 s[18:19], 0xffffffff
	s_mul_i32 s44, s5, s24
	v_mul_f32_e32 v1, 0x4f7ffffe, v1
	s_mul_i32 s47, s6, s5
	v_mul_lo_u32 v5, s1, v3
	s_ashr_i32 s34, s13, 31
	s_delay_alu instid0(VALU_DEP_2)
	v_cvt_u32_f32_e32 v0, v1
	s_wait_kmcnt 0x0
	s_add_nc_u64 s[20:21], s[38:39], s[22:23]
	s_add_nc_u64 s[22:23], s[30:31], s[2:3]
	s_mul_i32 s46, s46, s11
	s_mul_u64 s[2:3], s[50:51], s[28:29]
	v_mul_lo_u32 v4, s0, v0
	s_mul_u64 s[26:27], s[48:49], s[26:27]
	s_lshl_b64 s[2:3], s[2:3], 2
	v_mul_hi_u32 v5, v3, v5
	s_lshl_b64 s[28:29], s[26:27], 2
	v_cmp_gt_i32_e64 s0, s9, v22
	s_add_nc_u64 s[2:3], s[2:3], s[28:29]
	s_lshl_b64 s[24:25], s[52:53], 2
	s_lshl_b64 s[26:27], s[54:55], 2
	;; [unrolled: 1-line block ×3, first 2 shown]
	s_add_nc_u64 s[30:31], s[36:37], s[2:3]
	v_mul_hi_u32 v4, v0, v4
	v_mov_b32_e32 v1, 0
	s_mov_b32 s48, 0
	s_delay_alu instid0(VALU_DEP_2)
	v_dual_add_nc_u32 v24, v3, v5 :: v_dual_add_nc_u32 v23, v0, v4
	s_branch .LBB1_12
.LBB1_11:                               ;   in Loop: Header=BB1_12 Depth=1
	s_or_b32 exec_lo, exec_lo, s35
	v_add_nc_u32_e32 v2, s46, v2
	s_delay_alu instid0(VALU_DEP_1) | instskip(SKIP_1) | instid1(SALU_CYCLE_1)
	v_cmp_le_i32_e32 vcc_lo, s8, v2
	s_or_b32 s48, vcc_lo, s48
	s_and_not1_b32 exec_lo, exec_lo, s48
	s_cbranch_execz .LBB1_51
.LBB1_12:                               ; =>This Loop Header: Depth=1
                                        ;     Child Loop BB1_28 Depth 2
                                        ;       Child Loop BB1_44 Depth 3
                                        ;         Child Loop BB1_47 Depth 4
                                        ;           Child Loop BB1_49 Depth 5
	s_delay_alu instid0(VALU_DEP_2) | instskip(SKIP_1) | instid1(VALU_DEP_1)
	v_dual_mov_b32 v4, v1 :: v_dual_ashrrev_i32 v3, 31, v2
	s_mov_b32 s1, exec_lo
                                        ; implicit-def: $vgpr6_vgpr7
	v_or_b32_e32 v5, s13, v3
	s_delay_alu instid0(VALU_DEP_1)
	v_cmpx_ne_u64_e32 0, v[4:5]
	s_xor_b32 s1, exec_lo, s1
	s_cbranch_execz .LBB1_14
; %bb.13:                               ;   in Loop: Header=BB1_12 Depth=1
	v_ashrrev_i32_e32 v0, 31, v2
	s_delay_alu instid0(VALU_DEP_1) | instskip(NEXT) | instid1(VALU_DEP_1)
	v_add_nc_u32_e32 v4, v2, v0
	v_xor_b32_e32 v4, v4, v0
	s_delay_alu instid0(VALU_DEP_1) | instskip(NEXT) | instid1(VALU_DEP_1)
	v_mul_hi_u32 v5, v4, v23
	v_mul_lo_u32 v6, v5, s43
	s_delay_alu instid0(VALU_DEP_1) | instskip(SKIP_1) | instid1(VALU_DEP_2)
	v_dual_sub_nc_u32 v4, v4, v6 :: v_dual_add_nc_u32 v6, 1, v5
	v_xor_b32_e32 v0, s42, v0
	v_subrev_nc_u32_e32 v7, s43, v4
	v_cmp_le_u32_e32 vcc_lo, s43, v4
	s_delay_alu instid0(VALU_DEP_2) | instskip(NEXT) | instid1(VALU_DEP_1)
	v_dual_cndmask_b32 v4, v4, v7 :: v_dual_cndmask_b32 v5, v5, v6
	v_cmp_le_u32_e32 vcc_lo, s43, v4
	s_delay_alu instid0(VALU_DEP_2) | instskip(NEXT) | instid1(VALU_DEP_1)
	v_add_nc_u32_e32 v6, 1, v5
	v_cndmask_b32_e32 v4, v5, v6, vcc_lo
	s_delay_alu instid0(VALU_DEP_1) | instskip(NEXT) | instid1(VALU_DEP_1)
	v_xor_b32_e32 v4, v4, v0
	v_sub_nc_u32_e32 v6, v4, v0
	s_delay_alu instid0(VALU_DEP_1)
	v_ashrrev_i32_e32 v7, 31, v6
.LBB1_14:                               ;   in Loop: Header=BB1_12 Depth=1
	s_and_not1_saveexec_b32 s1, s1
	s_cbranch_execz .LBB1_16
; %bb.15:                               ;   in Loop: Header=BB1_12 Depth=1
	v_mul_hi_u32 v0, v2, v24
	s_delay_alu instid0(VALU_DEP_1) | instskip(SKIP_1) | instid1(VALU_DEP_2)
	v_mul_lo_u32 v4, v0, s12
	v_add_nc_u32_e32 v5, 1, v0
	v_sub_nc_u32_e32 v4, v2, v4
	s_delay_alu instid0(VALU_DEP_1) | instskip(NEXT) | instid1(VALU_DEP_3)
	v_cmp_le_u32_e32 vcc_lo, s12, v4
	v_cndmask_b32_e32 v0, v0, v5, vcc_lo
	v_subrev_nc_u32_e32 v6, s12, v4
	s_delay_alu instid0(VALU_DEP_1) | instskip(NEXT) | instid1(VALU_DEP_1)
	v_dual_cndmask_b32 v4, v4, v6 :: v_dual_add_nc_u32 v5, 1, v0
	v_cmp_le_u32_e32 vcc_lo, s12, v4
	s_delay_alu instid0(VALU_DEP_2) | instskip(NEXT) | instid1(VALU_DEP_1)
	v_cndmask_b32_e32 v0, v0, v5, vcc_lo
	v_mov_b64_e32 v[6:7], v[0:1]
.LBB1_16:                               ;   in Loop: Header=BB1_12 Depth=1
	s_or_b32 exec_lo, exec_lo, s1
	s_delay_alu instid0(VALU_DEP_1) | instskip(SKIP_1) | instid1(VALU_DEP_2)
	v_mul_u64_e32 v[4:5], s[12:13], v[6:7]
	v_mov_b32_e32 v8, v1
	v_sub_nc_u64_e32 v[4:5], v[2:3], v[4:5]
	s_delay_alu instid0(VALU_DEP_1) | instskip(NEXT) | instid1(VALU_DEP_1)
	v_mul_u64_e32 v[4:5], s[16:17], v[4:5]
	v_or_b32_e32 v9, s13, v5
	s_delay_alu instid0(VALU_DEP_1) | instskip(SKIP_1) | instid1(SALU_CYCLE_1)
	v_cmp_ne_u64_e32 vcc_lo, 0, v[8:9]
                                        ; implicit-def: $vgpr8_vgpr9
	s_and_saveexec_b32 s1, vcc_lo
	s_xor_b32 s4, exec_lo, s1
	s_cbranch_execz .LBB1_18
; %bb.17:                               ;   in Loop: Header=BB1_12 Depth=1
	s_mov_b32 s35, s34
	s_mov_b32 s51, s10
	s_add_nc_u64 s[2:3], s[12:13], s[34:35]
	s_mov_b32 s55, s10
	s_xor_b64 s[2:3], s[2:3], s[34:35]
	v_dual_mov_b32 v13, v1 :: v_dual_ashrrev_i32 v8, 31, v5
	s_cvt_f32_u32 s1, s2
	s_cvt_f32_u32 s11, s3
	s_sub_nc_u64 s[38:39], 0, s[2:3]
	s_delay_alu instid0(VALU_DEP_1) | instskip(NEXT) | instid1(SALU_CYCLE_1)
	v_dual_mov_b32 v9, v8 :: v_dual_mov_b32 v17, v1
	s_fmamk_f32 s1, s11, 0x4f800000, s1
	s_delay_alu instid0(VALU_DEP_1) | instskip(NEXT) | instid1(SALU_CYCLE_2)
	v_add_nc_u64_e32 v[4:5], v[4:5], v[8:9]
	v_s_rcp_f32 s1, s1
	s_delay_alu instid0(VALU_DEP_1) | instskip(NEXT) | instid1(VALU_DEP_2)
	v_xor_b32_e32 v0, v4, v8
	v_xor_b32_e32 v12, v5, v8
	s_delay_alu instid0(TRANS32_DEP_1) | instskip(SKIP_1) | instid1(SALU_CYCLE_2)
	s_mul_f32 s1, s1, 0x5f7ffffc
	v_xor_b32_e32 v8, s34, v8
	s_mul_f32 s11, s1, 0x2f800000
	s_delay_alu instid0(SALU_CYCLE_3) | instskip(NEXT) | instid1(SALU_CYCLE_3)
	s_trunc_f32 s11, s11
	s_fmamk_f32 s1, s11, 0xcf800000, s1
	s_cvt_u32_f32 s37, s11
	s_delay_alu instid0(SALU_CYCLE_2) | instskip(NEXT) | instid1(SALU_CYCLE_3)
	s_cvt_u32_f32 s36, s1
	s_mul_u64 s[52:53], s[38:39], s[36:37]
	s_delay_alu instid0(SALU_CYCLE_1)
	s_mul_hi_u32 s57, s36, s53
	s_mul_i32 s56, s36, s53
	s_mul_hi_u32 s50, s36, s52
	s_mul_i32 s11, s37, s52
	s_add_nc_u64 s[50:51], s[50:51], s[56:57]
	s_mul_hi_u32 s1, s37, s52
	s_mul_hi_u32 s35, s37, s53
	s_add_co_u32 s11, s50, s11
	s_add_co_ci_u32 s54, s51, s1
	s_mul_i32 s52, s37, s53
	s_add_co_ci_u32 s53, s35, 0
	s_delay_alu instid0(SALU_CYCLE_1) | instskip(SKIP_3) | instid1(SALU_CYCLE_1)
	s_add_nc_u64 s[50:51], s[54:55], s[52:53]
	s_mov_b32 s53, s10
	s_add_co_u32 s36, s36, s50
	s_cselect_b32 s1, -1, 0
	s_cmp_lg_u32 s1, 0
	s_add_co_ci_u32 s37, s37, s51
	s_mov_b32 s51, s10
	s_mul_u64 s[38:39], s[38:39], s[36:37]
	s_delay_alu instid0(SALU_CYCLE_1)
	s_mul_hi_u32 s55, s36, s39
	s_mul_i32 s54, s36, s39
	s_mul_hi_u32 s52, s36, s38
	s_mul_i32 s11, s37, s38
	s_add_nc_u64 s[52:53], s[52:53], s[54:55]
	s_mul_hi_u32 s1, s37, s38
	s_mul_hi_u32 s35, s37, s39
	s_add_co_u32 s11, s52, s11
	s_add_co_ci_u32 s50, s53, s1
	s_mul_i32 s38, s37, s39
	s_add_co_ci_u32 s39, s35, 0
	s_delay_alu instid0(SALU_CYCLE_1) | instskip(NEXT) | instid1(SALU_CYCLE_1)
	s_add_nc_u64 s[38:39], s[50:51], s[38:39]
	s_add_co_u32 s36, s36, s38
	s_cselect_b32 s1, -1, 0
	v_mul_hi_u32 v16, v0, s36
	s_cmp_lg_u32 s1, 0
	s_add_co_ci_u32 s50, s37, s39
	s_and_b64 s[38:39], s[36:37], s[18:19]
	v_mul_u64_e32 v[10:11], s[50:51], v[0:1]
	v_mul_u64_e32 v[4:5], s[38:39], v[12:13]
	;; [unrolled: 1-line block ×3, first 2 shown]
	s_delay_alu instid0(VALU_DEP_3) | instskip(NEXT) | instid1(VALU_DEP_1)
	v_add_nc_u64_e32 v[10:11], v[16:17], v[10:11]
	v_add_co_u32 v4, vcc_lo, v10, v4
	s_delay_alu instid0(VALU_DEP_2) | instskip(NEXT) | instid1(VALU_DEP_4)
	v_add_co_ci_u32_e32 v16, vcc_lo, v11, v5, vcc_lo
	v_add_co_ci_u32_e32 v15, vcc_lo, 0, v15, vcc_lo
	s_delay_alu instid0(VALU_DEP_1) | instskip(NEXT) | instid1(VALU_DEP_1)
	v_add_nc_u64_e32 v[4:5], v[16:17], v[14:15]
	v_mul_u64_e32 v[10:11], s[2:3], v[4:5]
	s_delay_alu instid0(VALU_DEP_1) | instskip(NEXT) | instid1(VALU_DEP_2)
	v_sub_nc_u32_e32 v7, v12, v11
	v_sub_co_u32 v0, vcc_lo, v0, v10
	s_delay_alu instid0(VALU_DEP_1) | instskip(NEXT) | instid1(VALU_DEP_3)
	v_sub_co_ci_u32_e64 v14, null, v12, v11, vcc_lo
	v_subrev_co_ci_u32_e64 v7, null, s3, v7, vcc_lo
	s_delay_alu instid0(VALU_DEP_3) | instskip(SKIP_1) | instid1(VALU_DEP_3)
	v_sub_co_u32 v9, s1, v0, s2
	v_add_nc_u64_e32 v[12:13], 1, v[4:5]
	v_subrev_co_ci_u32_e64 v7, null, 0, v7, s1
	s_delay_alu instid0(VALU_DEP_3) | instskip(SKIP_1) | instid1(VALU_DEP_3)
	v_cmp_le_u32_e32 vcc_lo, s2, v9
	v_cndmask_b32_e64 v9, 0, -1, vcc_lo
	v_cmp_le_u32_e32 vcc_lo, s3, v7
	v_cndmask_b32_e64 v10, 0, -1, vcc_lo
	v_cmp_le_u32_e32 vcc_lo, s2, v0
	v_cndmask_b32_e64 v0, 0, -1, vcc_lo
	v_cmp_le_u32_e32 vcc_lo, s3, v14
	v_cndmask_b32_e64 v15, 0, -1, vcc_lo
	v_cmp_eq_u32_e32 vcc_lo, s3, v7
	v_cndmask_b32_e32 v7, v10, v9, vcc_lo
	v_cmp_eq_u32_e32 vcc_lo, s3, v14
	v_add_nc_u64_e32 v[10:11], 2, v[4:5]
	v_cndmask_b32_e32 v0, v15, v0, vcc_lo
	s_delay_alu instid0(VALU_DEP_4) | instskip(NEXT) | instid1(VALU_DEP_2)
	v_cmp_ne_u32_e32 vcc_lo, 0, v7
	v_cmp_ne_u32_e64 s1, 0, v0
	s_delay_alu instid0(VALU_DEP_4) | instskip(NEXT) | instid1(VALU_DEP_1)
	v_dual_cndmask_b32 v7, v13, v11 :: v_dual_cndmask_b32 v0, v12, v10
	v_dual_cndmask_b32 v5, v5, v7, s1 :: v_dual_cndmask_b32 v0, v4, v0, s1
	s_delay_alu instid0(VALU_DEP_1) | instskip(NEXT) | instid1(VALU_DEP_2)
	v_dual_mov_b32 v9, v8 :: v_dual_bitop2_b32 v5, v5, v8 bitop3:0x14
	v_xor_b32_e32 v4, v0, v8
	s_delay_alu instid0(VALU_DEP_1)
	v_sub_nc_u64_e32 v[8:9], v[4:5], v[8:9]
                                        ; implicit-def: $vgpr4_vgpr5
.LBB1_18:                               ;   in Loop: Header=BB1_12 Depth=1
	s_and_not1_saveexec_b32 s1, s4
	s_cbranch_execz .LBB1_20
; %bb.19:                               ;   in Loop: Header=BB1_12 Depth=1
	s_delay_alu instid0(VALU_DEP_3) | instskip(NEXT) | instid1(VALU_DEP_1)
	v_mul_hi_u32 v0, v4, v24
	v_mul_lo_u32 v5, v0, s12
	s_delay_alu instid0(VALU_DEP_1) | instskip(NEXT) | instid1(VALU_DEP_1)
	v_dual_sub_nc_u32 v4, v4, v5 :: v_dual_add_nc_u32 v5, 1, v0
	v_subrev_nc_u32_e32 v7, s12, v4
	v_cmp_le_u32_e32 vcc_lo, s12, v4
	s_delay_alu instid0(VALU_DEP_3) | instskip(NEXT) | instid1(VALU_DEP_1)
	v_cndmask_b32_e32 v0, v0, v5, vcc_lo
	v_dual_cndmask_b32 v4, v4, v7 :: v_dual_add_nc_u32 v5, 1, v0
	s_delay_alu instid0(VALU_DEP_1) | instskip(NEXT) | instid1(VALU_DEP_2)
	v_cmp_le_u32_e32 vcc_lo, s12, v4
	v_cndmask_b32_e32 v0, v0, v5, vcc_lo
	s_delay_alu instid0(VALU_DEP_1)
	v_mov_b64_e32 v[8:9], v[0:1]
.LBB1_20:                               ;   in Loop: Header=BB1_12 Depth=1
	s_or_b32 exec_lo, exec_lo, s1
	v_add_nc_u64_e32 v[10:11], 1, v[2:3]
	s_delay_alu instid0(VALU_DEP_1) | instskip(NEXT) | instid1(VALU_DEP_1)
	v_mad_nc_u64_u32 v[4:5], v10, s16, -1
	v_mad_u32 v0, v11, s16, v5
	s_delay_alu instid0(VALU_DEP_1) | instskip(NEXT) | instid1(VALU_DEP_1)
	v_mad_u32 v5, v10, s17, v0
	v_dual_mov_b32 v10, v1 :: v_dual_bitop2_b32 v11, s13, v5 bitop3:0x54
	s_delay_alu instid0(VALU_DEP_1) | instskip(SKIP_1) | instid1(SALU_CYCLE_1)
	v_cmp_ne_u64_e32 vcc_lo, 0, v[10:11]
                                        ; implicit-def: $vgpr10_vgpr11
	s_and_saveexec_b32 s1, vcc_lo
	s_xor_b32 s4, exec_lo, s1
	s_cbranch_execnz .LBB1_23
; %bb.21:                               ;   in Loop: Header=BB1_12 Depth=1
	s_and_not1_saveexec_b32 s1, s4
	s_cbranch_execnz .LBB1_24
.LBB1_22:                               ;   in Loop: Header=BB1_12 Depth=1
	s_or_b32 exec_lo, exec_lo, s1
	s_and_saveexec_b32 s35, s0
	s_cbranch_execz .LBB1_11
	s_branch .LBB1_25
.LBB1_23:                               ;   in Loop: Header=BB1_12 Depth=1
	s_mov_b32 s35, s34
	s_mov_b32 s51, s10
	s_add_nc_u64 s[2:3], s[12:13], s[34:35]
	s_mov_b32 s55, s10
	s_xor_b64 s[2:3], s[2:3], s[34:35]
	v_dual_mov_b32 v15, v1 :: v_dual_ashrrev_i32 v10, 31, v5
	s_cvt_f32_u32 s1, s2
	s_cvt_f32_u32 s11, s3
	s_sub_nc_u64 s[38:39], 0, s[2:3]
	s_delay_alu instid0(VALU_DEP_1) | instskip(NEXT) | instid1(SALU_CYCLE_1)
	v_mov_b32_e32 v11, v10
	s_fmamk_f32 s1, s11, 0x4f800000, s1
	s_delay_alu instid0(VALU_DEP_1) | instskip(NEXT) | instid1(SALU_CYCLE_2)
	v_add_nc_u64_e32 v[4:5], v[4:5], v[10:11]
	v_s_rcp_f32 s1, s1
	s_delay_alu instid0(VALU_DEP_1) | instskip(NEXT) | instid1(VALU_DEP_2)
	v_xor_b32_e32 v0, v4, v10
	v_xor_b32_e32 v14, v5, v10
	s_delay_alu instid0(TRANS32_DEP_1) | instskip(SKIP_1) | instid1(SALU_CYCLE_2)
	s_mul_f32 s1, s1, 0x5f7ffffc
	v_dual_mov_b32 v19, v1 :: v_dual_bitop2_b32 v10, s34, v10 bitop3:0x14
	s_mul_f32 s11, s1, 0x2f800000
	s_delay_alu instid0(SALU_CYCLE_3) | instskip(NEXT) | instid1(SALU_CYCLE_3)
	s_trunc_f32 s11, s11
	s_fmamk_f32 s1, s11, 0xcf800000, s1
	s_cvt_u32_f32 s37, s11
	s_delay_alu instid0(SALU_CYCLE_2) | instskip(NEXT) | instid1(SALU_CYCLE_3)
	s_cvt_u32_f32 s36, s1
	s_mul_u64 s[52:53], s[38:39], s[36:37]
	s_delay_alu instid0(SALU_CYCLE_1)
	s_mul_hi_u32 s57, s36, s53
	s_mul_i32 s56, s36, s53
	s_mul_hi_u32 s50, s36, s52
	s_mul_i32 s11, s37, s52
	s_add_nc_u64 s[50:51], s[50:51], s[56:57]
	s_mul_hi_u32 s1, s37, s52
	s_mul_hi_u32 s35, s37, s53
	s_add_co_u32 s11, s50, s11
	s_add_co_ci_u32 s54, s51, s1
	s_mul_i32 s52, s37, s53
	s_add_co_ci_u32 s53, s35, 0
	s_delay_alu instid0(SALU_CYCLE_1) | instskip(SKIP_3) | instid1(SALU_CYCLE_1)
	s_add_nc_u64 s[50:51], s[54:55], s[52:53]
	s_mov_b32 s53, s10
	s_add_co_u32 s36, s36, s50
	s_cselect_b32 s1, -1, 0
	s_cmp_lg_u32 s1, 0
	s_add_co_ci_u32 s37, s37, s51
	s_mov_b32 s51, s10
	s_mul_u64 s[38:39], s[38:39], s[36:37]
	s_delay_alu instid0(SALU_CYCLE_1)
	s_mul_hi_u32 s55, s36, s39
	s_mul_i32 s54, s36, s39
	s_mul_hi_u32 s52, s36, s38
	s_mul_i32 s11, s37, s38
	s_add_nc_u64 s[52:53], s[52:53], s[54:55]
	s_mul_hi_u32 s1, s37, s38
	s_mul_hi_u32 s35, s37, s39
	s_add_co_u32 s11, s52, s11
	s_add_co_ci_u32 s50, s53, s1
	s_mul_i32 s38, s37, s39
	s_add_co_ci_u32 s39, s35, 0
	s_delay_alu instid0(SALU_CYCLE_1) | instskip(NEXT) | instid1(SALU_CYCLE_1)
	s_add_nc_u64 s[38:39], s[50:51], s[38:39]
	s_add_co_u32 s36, s36, s38
	s_cselect_b32 s1, -1, 0
	v_mul_hi_u32 v18, v0, s36
	s_cmp_lg_u32 s1, 0
	s_add_co_ci_u32 s50, s37, s39
	s_and_b64 s[38:39], s[36:37], s[18:19]
	v_mul_u64_e32 v[12:13], s[50:51], v[0:1]
	v_mul_u64_e32 v[4:5], s[38:39], v[14:15]
	;; [unrolled: 1-line block ×3, first 2 shown]
	s_delay_alu instid0(VALU_DEP_3) | instskip(NEXT) | instid1(VALU_DEP_1)
	v_add_nc_u64_e32 v[12:13], v[18:19], v[12:13]
	v_add_co_u32 v3, vcc_lo, v12, v4
	s_delay_alu instid0(VALU_DEP_2) | instskip(NEXT) | instid1(VALU_DEP_4)
	v_add_co_ci_u32_e32 v18, vcc_lo, v13, v5, vcc_lo
	v_add_co_ci_u32_e32 v17, vcc_lo, 0, v17, vcc_lo
	s_delay_alu instid0(VALU_DEP_1) | instskip(NEXT) | instid1(VALU_DEP_1)
	v_add_nc_u64_e32 v[4:5], v[18:19], v[16:17]
	v_mul_u64_e32 v[12:13], s[2:3], v[4:5]
	s_delay_alu instid0(VALU_DEP_1) | instskip(NEXT) | instid1(VALU_DEP_2)
	v_sub_nc_u32_e32 v3, v14, v13
	v_sub_co_u32 v0, vcc_lo, v0, v12
	s_delay_alu instid0(VALU_DEP_1) | instskip(NEXT) | instid1(VALU_DEP_3)
	v_sub_co_ci_u32_e64 v11, null, v14, v13, vcc_lo
	v_subrev_co_ci_u32_e64 v3, null, s3, v3, vcc_lo
	s_delay_alu instid0(VALU_DEP_3) | instskip(SKIP_1) | instid1(VALU_DEP_3)
	v_sub_co_u32 v7, s1, v0, s2
	v_add_nc_u64_e32 v[14:15], 1, v[4:5]
	v_subrev_co_ci_u32_e64 v3, null, 0, v3, s1
	s_delay_alu instid0(VALU_DEP_3) | instskip(SKIP_1) | instid1(VALU_DEP_3)
	v_cmp_le_u32_e32 vcc_lo, s2, v7
	v_cndmask_b32_e64 v7, 0, -1, vcc_lo
	v_cmp_le_u32_e32 vcc_lo, s3, v3
	v_cndmask_b32_e64 v12, 0, -1, vcc_lo
	;; [unrolled: 2-line block ×4, first 2 shown]
	v_cmp_eq_u32_e32 vcc_lo, s3, v3
	v_cndmask_b32_e32 v3, v12, v7, vcc_lo
	v_cmp_eq_u32_e32 vcc_lo, s3, v11
	v_add_nc_u64_e32 v[12:13], 2, v[4:5]
	v_cndmask_b32_e32 v0, v16, v0, vcc_lo
	s_delay_alu instid0(VALU_DEP_4) | instskip(NEXT) | instid1(VALU_DEP_3)
	v_cmp_ne_u32_e32 vcc_lo, 0, v3
	v_cndmask_b32_e32 v3, v15, v13, vcc_lo
	s_delay_alu instid0(VALU_DEP_3) | instskip(NEXT) | instid1(VALU_DEP_1)
	v_cmp_ne_u32_e64 s1, 0, v0
	v_dual_cndmask_b32 v0, v14, v12, vcc_lo :: v_dual_cndmask_b32 v3, v5, v3, s1
	s_delay_alu instid0(VALU_DEP_1) | instskip(NEXT) | instid1(VALU_DEP_2)
	v_dual_cndmask_b32 v0, v4, v0, s1 :: v_dual_mov_b32 v11, v10
	v_xor_b32_e32 v5, v3, v10
	s_delay_alu instid0(VALU_DEP_2) | instskip(NEXT) | instid1(VALU_DEP_1)
	v_xor_b32_e32 v4, v0, v10
	v_sub_nc_u64_e32 v[10:11], v[4:5], v[10:11]
                                        ; implicit-def: $vgpr4_vgpr5
	s_and_not1_saveexec_b32 s1, s4
	s_cbranch_execz .LBB1_22
.LBB1_24:                               ;   in Loop: Header=BB1_12 Depth=1
	v_mul_hi_u32 v0, v4, v24
	s_delay_alu instid0(VALU_DEP_1) | instskip(NEXT) | instid1(VALU_DEP_1)
	v_mul_lo_u32 v3, v0, s12
	v_dual_sub_nc_u32 v3, v4, v3 :: v_dual_add_nc_u32 v4, 1, v0
	s_delay_alu instid0(VALU_DEP_1) | instskip(SKIP_1) | instid1(VALU_DEP_2)
	v_subrev_nc_u32_e32 v5, s12, v3
	v_cmp_le_u32_e32 vcc_lo, s12, v3
	v_dual_cndmask_b32 v3, v3, v5 :: v_dual_cndmask_b32 v0, v0, v4
	s_delay_alu instid0(VALU_DEP_1) | instskip(NEXT) | instid1(VALU_DEP_2)
	v_cmp_le_u32_e32 vcc_lo, s12, v3
	v_add_nc_u32_e32 v4, 1, v0
	s_delay_alu instid0(VALU_DEP_1)
	v_cndmask_b32_e32 v10, v0, v4, vcc_lo
	s_or_b32 exec_lo, exec_lo, s1
	s_and_saveexec_b32 s35, s0
	s_cbranch_execz .LBB1_11
.LBB1_25:                               ;   in Loop: Header=BB1_12 Depth=1
	v_mad_nc_u64_u32 v[12:13], v6, s16, v[8:9]
	v_mul_lo_u32 v14, v2, s9
	s_mov_b32 s49, 0
	v_add_nc_u32_e32 v6, s45, v6
	s_delay_alu instid0(VALU_DEP_1) | instskip(NEXT) | instid1(VALU_DEP_4)
	v_mad_u32 v26, s5, v6, v8
	v_mad_nc_u64_u32 v[4:5], s24, v12, s[30:31]
	v_dual_sub_nc_u32 v3, v10, v12 :: v_dual_ashrrev_i32 v7, 31, v12
	s_delay_alu instid0(VALU_DEP_2) | instskip(SKIP_1) | instid1(VALU_DEP_3)
	v_mad_u32 v0, s25, v12, v5
	v_dual_add_nc_u32 v5, s44, v12 :: v_dual_ashrrev_i32 v15, 31, v14
	v_add_nc_u32_e32 v3, 1, v3
	s_delay_alu instid0(VALU_DEP_2) | instskip(NEXT) | instid1(VALU_DEP_3)
	v_mul_lo_u32 v25, v5, s6
	v_lshl_add_u64 v[8:9], v[14:15], 3, s[22:23]
	s_delay_alu instid0(VALU_DEP_3)
	v_cmp_lt_i32_e64 s1, 0, v3
	v_mad_u32 v5, s24, v7, v0
	v_lshl_add_u64 v[6:7], v[14:15], 2, s[20:21]
	v_mov_b32_e32 v0, v22
	s_branch .LBB1_28
.LBB1_26:                               ;   in Loop: Header=BB1_28 Depth=2
	v_mov_b32_e32 v18, 0xff800000
.LBB1_27:                               ;   in Loop: Header=BB1_28 Depth=2
	v_lshl_add_u64 v[10:11], v[0:1], 2, v[6:7]
	v_lshl_add_u64 v[12:13], v[0:1], 3, v[8:9]
	v_add_nc_u32_e32 v0, s40, v0
	global_store_b32 v[10:11], v18, off
	global_store_b64 v[12:13], v[14:15], off
	v_cmp_le_i32_e32 vcc_lo, s9, v0
	s_or_b32 s49, vcc_lo, s49
	s_wait_xcnt 0x0
	s_and_not1_b32 exec_lo, exec_lo, s49
	s_cbranch_execz .LBB1_11
.LBB1_28:                               ;   Parent Loop BB1_12 Depth=1
                                        ; =>  This Loop Header: Depth=2
                                        ;       Child Loop BB1_44 Depth 3
                                        ;         Child Loop BB1_47 Depth 4
                                        ;           Child Loop BB1_49 Depth 5
	s_mov_b32 s11, s15
                                        ; implicit-def: $vgpr10_vgpr11
	s_delay_alu instid0(SALU_CYCLE_1) | instskip(SKIP_1) | instid1(SALU_CYCLE_1)
	s_cmp_lg_u64 s[10:11], 0
	s_cselect_b32 s2, -1, 0
	s_and_saveexec_b32 s3, s2
	s_delay_alu instid0(SALU_CYCLE_1)
	s_xor_b32 s3, exec_lo, s3
	s_cbranch_execz .LBB1_30
; %bb.29:                               ;   in Loop: Header=BB1_28 Depth=2
	s_ashr_i32 s36, s15, 31
	s_mov_b32 s55, s10
	s_mov_b32 s37, s36
	;; [unrolled: 1-line block ×3, first 2 shown]
	s_add_nc_u64 s[38:39], s[14:15], s[36:37]
	v_add_nc_u64_e32 v[10:11], 0, v[0:1]
	s_xor_b64 s[38:39], s[38:39], s[36:37]
	v_mov_b32_e32 v13, v1
	s_cvt_f32_u32 s2, s38
	s_cvt_f32_u32 s4, s39
	s_sub_nc_u64 s[52:53], 0, s[38:39]
	s_delay_alu instid0(VALU_DEP_2) | instskip(NEXT) | instid1(SALU_CYCLE_1)
	v_dual_mov_b32 v15, v1 :: v_dual_mov_b32 v14, v11
	s_fmamk_f32 s2, s4, 0x4f800000, s2
	v_dual_mov_b32 v12, v10 :: v_dual_mov_b32 v19, v1
	s_delay_alu instid0(SALU_CYCLE_2) | instskip(NEXT) | instid1(TRANS32_DEP_1)
	v_s_rcp_f32 s2, s2
	s_mul_f32 s2, s2, 0x5f7ffffc
	s_delay_alu instid0(SALU_CYCLE_3) | instskip(NEXT) | instid1(SALU_CYCLE_3)
	s_mul_f32 s4, s2, 0x2f800000
	s_trunc_f32 s4, s4
	s_delay_alu instid0(SALU_CYCLE_3) | instskip(SKIP_1) | instid1(SALU_CYCLE_2)
	s_fmamk_f32 s2, s4, 0xcf800000, s2
	s_cvt_u32_f32 s51, s4
	s_cvt_u32_f32 s50, s2
	s_delay_alu instid0(SALU_CYCLE_3) | instskip(NEXT) | instid1(SALU_CYCLE_1)
	s_mul_u64 s[56:57], s[52:53], s[50:51]
	s_mul_hi_u32 s61, s50, s57
	s_mul_i32 s60, s50, s57
	s_mul_hi_u32 s54, s50, s56
	s_mul_i32 s4, s51, s56
	s_add_nc_u64 s[54:55], s[54:55], s[60:61]
	s_mul_hi_u32 s2, s51, s56
	s_mul_hi_u32 s11, s51, s57
	s_add_co_u32 s4, s54, s4
	s_add_co_ci_u32 s58, s55, s2
	s_mul_i32 s56, s51, s57
	s_add_co_ci_u32 s57, s11, 0
	s_delay_alu instid0(SALU_CYCLE_1) | instskip(SKIP_3) | instid1(SALU_CYCLE_1)
	s_add_nc_u64 s[54:55], s[58:59], s[56:57]
	s_mov_b32 s57, s10
	s_add_co_u32 s50, s50, s54
	s_cselect_b32 s2, -1, 0
	s_cmp_lg_u32 s2, 0
	s_add_co_ci_u32 s51, s51, s55
	s_mov_b32 s55, s10
	s_mul_u64 s[52:53], s[52:53], s[50:51]
	s_delay_alu instid0(SALU_CYCLE_1)
	s_mul_hi_u32 s59, s50, s53
	s_mul_i32 s58, s50, s53
	s_mul_hi_u32 s56, s50, s52
	s_mul_i32 s4, s51, s52
	s_add_nc_u64 s[56:57], s[56:57], s[58:59]
	s_mul_hi_u32 s2, s51, s52
	s_mul_hi_u32 s11, s51, s53
	s_add_co_u32 s4, s56, s4
	s_add_co_ci_u32 s54, s57, s2
	s_mul_i32 s52, s51, s53
	s_add_co_ci_u32 s53, s11, 0
	s_delay_alu instid0(SALU_CYCLE_1) | instskip(NEXT) | instid1(SALU_CYCLE_1)
	s_add_nc_u64 s[52:53], s[54:55], s[52:53]
	s_add_co_u32 s2, s50, s52
	s_cselect_b32 s4, -1, 0
	v_nop
	v_mul_hi_u32 v18, v10, s2
	s_cmp_lg_u32 s4, 0
	s_add_co_ci_u32 s54, s51, s53
	s_and_b64 s[50:51], s[2:3], s[18:19]
	v_mul_u64_e32 v[12:13], s[54:55], v[12:13]
	v_mul_u64_e32 v[16:17], s[50:51], v[14:15]
	;; [unrolled: 1-line block ×3, first 2 shown]
	s_delay_alu instid0(VALU_DEP_3) | instskip(NEXT) | instid1(VALU_DEP_1)
	v_add_nc_u64_e32 v[12:13], v[18:19], v[12:13]
	v_add_co_u32 v12, vcc_lo, v12, v16
	s_delay_alu instid0(VALU_DEP_2) | instskip(NEXT) | instid1(VALU_DEP_4)
	v_add_co_ci_u32_e32 v18, vcc_lo, v13, v17, vcc_lo
	v_add_co_ci_u32_e32 v15, vcc_lo, 0, v15, vcc_lo
	s_delay_alu instid0(VALU_DEP_1) | instskip(NEXT) | instid1(VALU_DEP_1)
	v_add_nc_u64_e32 v[12:13], v[18:19], v[14:15]
	v_mul_u64_e32 v[14:15], s[38:39], v[12:13]
	s_delay_alu instid0(VALU_DEP_1) | instskip(NEXT) | instid1(VALU_DEP_2)
	v_sub_nc_u32_e32 v16, v11, v15
	v_sub_co_u32 v10, vcc_lo, v10, v14
	s_delay_alu instid0(VALU_DEP_1) | instskip(NEXT) | instid1(VALU_DEP_3)
	v_sub_co_ci_u32_e64 v15, null, v11, v15, vcc_lo
	v_subrev_co_ci_u32_e64 v14, null, s39, v16, vcc_lo
	s_delay_alu instid0(VALU_DEP_3) | instskip(SKIP_1) | instid1(VALU_DEP_3)
	v_sub_co_u32 v18, s2, v10, s38
	v_cmp_le_u32_e32 vcc_lo, s38, v10
	v_subrev_co_ci_u32_e64 v14, null, 0, v14, s2
	s_delay_alu instid0(VALU_DEP_3) | instskip(SKIP_2) | instid1(VALU_DEP_4)
	v_cmp_le_u32_e64 s2, s38, v18
	v_add_nc_u64_e32 v[16:17], 2, v[12:13]
	v_cndmask_b32_e64 v20, 0, -1, vcc_lo
	v_cmp_eq_u32_e32 vcc_lo, s39, v14
	v_add_nc_u64_e32 v[10:11], 1, v[12:13]
	v_cndmask_b32_e64 v18, 0, -1, s2
	v_cmp_le_u32_e64 s2, s39, v14
	s_delay_alu instid0(VALU_DEP_1) | instskip(SKIP_1) | instid1(VALU_DEP_2)
	v_cndmask_b32_e64 v19, 0, -1, s2
	v_cmp_eq_u32_e64 s2, s39, v15
	v_cndmask_b32_e32 v14, v19, v18, vcc_lo
	v_cmp_le_u32_e32 vcc_lo, s39, v15
	v_cndmask_b32_e64 v18, 0, -1, vcc_lo
	s_delay_alu instid0(VALU_DEP_3) | instskip(NEXT) | instid1(VALU_DEP_2)
	v_cmp_ne_u32_e32 vcc_lo, 0, v14
	v_dual_cndmask_b32 v14, v18, v20, s2 :: v_dual_cndmask_b32 v11, v11, v17, vcc_lo
	v_cndmask_b32_e32 v10, v10, v16, vcc_lo
	s_delay_alu instid0(VALU_DEP_2) | instskip(NEXT) | instid1(VALU_DEP_2)
	v_cmp_ne_u32_e32 vcc_lo, 0, v14
	v_dual_cndmask_b32 v13, v13, v11 :: v_dual_cndmask_b32 v12, v12, v10
	v_dual_mov_b32 v11, s36 :: v_dual_mov_b32 v10, s36
	s_delay_alu instid0(VALU_DEP_2) | instskip(NEXT) | instid1(VALU_DEP_3)
	v_xor_b32_e32 v13, s36, v13
	v_xor_b32_e32 v12, s36, v12
	s_delay_alu instid0(VALU_DEP_1)
	v_sub_nc_u64_e32 v[10:11], v[12:13], v[10:11]
.LBB1_30:                               ;   in Loop: Header=BB1_28 Depth=2
	s_and_not1_saveexec_b32 s2, s3
	s_cbranch_execz .LBB1_32
; %bb.31:                               ;   in Loop: Header=BB1_28 Depth=2
	v_cvt_f32_u32_e32 v10, s14
	s_sub_co_i32 s3, 0, s14
	s_delay_alu instid0(VALU_DEP_1) | instskip(SKIP_1) | instid1(TRANS32_DEP_1)
	v_rcp_iflag_f32_e32 v10, v10
	v_nop
	v_mul_f32_e32 v10, 0x4f7ffffe, v10
	s_delay_alu instid0(VALU_DEP_1) | instskip(NEXT) | instid1(VALU_DEP_1)
	v_cvt_u32_f32_e32 v10, v10
	v_mul_lo_u32 v11, s3, v10
	s_delay_alu instid0(VALU_DEP_1) | instskip(NEXT) | instid1(VALU_DEP_1)
	v_mul_hi_u32 v11, v10, v11
	v_add_nc_u32_e32 v10, v10, v11
	s_delay_alu instid0(VALU_DEP_1) | instskip(NEXT) | instid1(VALU_DEP_1)
	v_mul_hi_u32 v10, v0, v10
	v_mul_lo_u32 v11, v10, s14
	s_delay_alu instid0(VALU_DEP_1) | instskip(NEXT) | instid1(VALU_DEP_1)
	v_dual_add_nc_u32 v12, 1, v10 :: v_dual_sub_nc_u32 v11, v0, v11
	v_subrev_nc_u32_e32 v13, s14, v11
	v_cmp_le_u32_e32 vcc_lo, s14, v11
	s_delay_alu instid0(VALU_DEP_2) | instskip(NEXT) | instid1(VALU_DEP_1)
	v_dual_cndmask_b32 v11, v11, v13 :: v_dual_cndmask_b32 v10, v10, v12
	v_cmp_le_u32_e32 vcc_lo, s14, v11
	s_delay_alu instid0(VALU_DEP_2) | instskip(NEXT) | instid1(VALU_DEP_1)
	v_dual_mov_b32 v11, v1 :: v_dual_add_nc_u32 v12, 1, v10
	v_cndmask_b32_e32 v10, v10, v12, vcc_lo
.LBB1_32:                               ;   in Loop: Header=BB1_28 Depth=2
	s_or_b32 exec_lo, exec_lo, s2
	s_delay_alu instid0(VALU_DEP_1) | instskip(NEXT) | instid1(VALU_DEP_1)
	v_mul_u64_e32 v[12:13], s[14:15], v[10:11]
	v_sub_nc_u64_e32 v[12:13], v[0:1], v[12:13]
	s_delay_alu instid0(VALU_DEP_1) | instskip(NEXT) | instid1(VALU_DEP_1)
	v_mul_u64_e32 v[14:15], s[6:7], v[12:13]
	v_dual_mov_b32 v12, v1 :: v_dual_bitop2_b32 v13, s15, v15 bitop3:0x54
	s_delay_alu instid0(VALU_DEP_1) | instskip(SKIP_1) | instid1(SALU_CYCLE_1)
	v_cmp_ne_u64_e32 vcc_lo, 0, v[12:13]
                                        ; implicit-def: $vgpr12_vgpr13
	s_and_saveexec_b32 s2, vcc_lo
	s_xor_b32 s3, exec_lo, s2
	s_cbranch_execz .LBB1_34
; %bb.33:                               ;   in Loop: Header=BB1_28 Depth=2
	s_ashr_i32 s36, s15, 31
	s_mov_b32 s55, s10
	s_mov_b32 s37, s36
	s_mov_b32 s59, s10
	s_add_nc_u64 s[38:39], s[14:15], s[36:37]
	v_dual_mov_b32 v17, v1 :: v_dual_ashrrev_i32 v12, 31, v15
	s_xor_b64 s[38:39], s[38:39], s[36:37]
	s_delay_alu instid0(SALU_CYCLE_1) | instskip(SKIP_3) | instid1(SALU_CYCLE_1)
	s_cvt_f32_u32 s2, s38
	s_cvt_f32_u32 s4, s39
	s_sub_nc_u64 s[52:53], 0, s[38:39]
	v_mov_b32_e32 v13, v12
	s_fmamk_f32 s2, s4, 0x4f800000, s2
	s_delay_alu instid0(VALU_DEP_1) | instskip(NEXT) | instid1(SALU_CYCLE_2)
	v_add_nc_u64_e32 v[14:15], v[14:15], v[12:13]
	v_s_rcp_f32 s2, s2
	s_delay_alu instid0(VALU_DEP_1) | instskip(NEXT) | instid1(VALU_DEP_2)
	v_dual_mov_b32 v21, v1 :: v_dual_bitop2_b32 v20, v15, v12 bitop3:0x14
	v_xor_b32_e32 v16, v14, v12
	s_delay_alu instid0(TRANS32_DEP_1) | instskip(SKIP_1) | instid1(SALU_CYCLE_2)
	s_mul_f32 s2, s2, 0x5f7ffffc
	v_dual_mov_b32 v31, v1 :: v_dual_bitop2_b32 v12, s36, v12 bitop3:0x14
	s_mul_f32 s4, s2, 0x2f800000
	s_delay_alu instid0(SALU_CYCLE_3) | instskip(NEXT) | instid1(SALU_CYCLE_3)
	s_trunc_f32 s4, s4
	s_fmamk_f32 s2, s4, 0xcf800000, s2
	s_cvt_u32_f32 s51, s4
	s_delay_alu instid0(SALU_CYCLE_2) | instskip(NEXT) | instid1(SALU_CYCLE_3)
	s_cvt_u32_f32 s50, s2
	s_mul_u64 s[56:57], s[52:53], s[50:51]
	s_delay_alu instid0(SALU_CYCLE_1)
	s_mul_hi_u32 s61, s50, s57
	s_mul_i32 s60, s50, s57
	s_mul_hi_u32 s54, s50, s56
	s_mul_i32 s4, s51, s56
	s_add_nc_u64 s[54:55], s[54:55], s[60:61]
	s_mul_hi_u32 s2, s51, s56
	s_mul_hi_u32 s11, s51, s57
	s_add_co_u32 s4, s54, s4
	s_add_co_ci_u32 s58, s55, s2
	s_mul_i32 s56, s51, s57
	s_add_co_ci_u32 s57, s11, 0
	s_delay_alu instid0(SALU_CYCLE_1) | instskip(SKIP_3) | instid1(SALU_CYCLE_1)
	s_add_nc_u64 s[54:55], s[58:59], s[56:57]
	s_mov_b32 s57, s10
	s_add_co_u32 s50, s50, s54
	s_cselect_b32 s2, -1, 0
	s_cmp_lg_u32 s2, 0
	s_add_co_ci_u32 s51, s51, s55
	s_mov_b32 s55, s10
	s_mul_u64 s[52:53], s[52:53], s[50:51]
	s_delay_alu instid0(SALU_CYCLE_1)
	s_mul_hi_u32 s59, s50, s53
	s_mul_i32 s58, s50, s53
	s_mul_hi_u32 s56, s50, s52
	s_mul_i32 s4, s51, s52
	s_add_nc_u64 s[56:57], s[56:57], s[58:59]
	s_mul_hi_u32 s2, s51, s52
	s_mul_hi_u32 s11, s51, s53
	s_add_co_u32 s4, s56, s4
	s_add_co_ci_u32 s54, s57, s2
	s_mul_i32 s52, s51, s53
	s_add_co_ci_u32 s53, s11, 0
	s_delay_alu instid0(SALU_CYCLE_1) | instskip(NEXT) | instid1(SALU_CYCLE_1)
	s_add_nc_u64 s[52:53], s[54:55], s[52:53]
	s_add_co_u32 s2, s50, s52
	s_cselect_b32 s4, -1, 0
	v_mul_hi_u32 v30, v16, s2
	s_cmp_lg_u32 s4, 0
	s_add_co_ci_u32 s54, s51, s53
	s_and_b64 s[50:51], s[2:3], s[18:19]
	v_mul_u64_e32 v[18:19], s[54:55], v[16:17]
	v_mul_u64_e32 v[14:15], s[50:51], v[20:21]
	v_mul_u64_e32 v[28:29], s[54:55], v[20:21]
	s_delay_alu instid0(VALU_DEP_3) | instskip(NEXT) | instid1(VALU_DEP_1)
	v_add_nc_u64_e32 v[18:19], v[30:31], v[18:19]
	v_add_co_u32 v11, vcc_lo, v18, v14
	s_delay_alu instid0(VALU_DEP_2) | instskip(NEXT) | instid1(VALU_DEP_4)
	v_add_co_ci_u32_e32 v30, vcc_lo, v19, v15, vcc_lo
	v_add_co_ci_u32_e32 v29, vcc_lo, 0, v29, vcc_lo
	s_delay_alu instid0(VALU_DEP_1) | instskip(NEXT) | instid1(VALU_DEP_1)
	v_add_nc_u64_e32 v[14:15], v[30:31], v[28:29]
	v_mul_u64_e32 v[18:19], s[38:39], v[14:15]
	s_delay_alu instid0(VALU_DEP_1) | instskip(NEXT) | instid1(VALU_DEP_2)
	v_sub_nc_u32_e32 v11, v20, v19
	v_sub_co_u32 v13, vcc_lo, v16, v18
	s_delay_alu instid0(VALU_DEP_1) | instskip(NEXT) | instid1(VALU_DEP_3)
	v_sub_co_ci_u32_e64 v20, null, v20, v19, vcc_lo
	v_subrev_co_ci_u32_e64 v11, null, s39, v11, vcc_lo
	s_delay_alu instid0(VALU_DEP_3) | instskip(SKIP_1) | instid1(VALU_DEP_3)
	v_sub_co_u32 v16, s2, v13, s38
	v_add_nc_u64_e32 v[18:19], 1, v[14:15]
	v_subrev_co_ci_u32_e64 v11, null, 0, v11, s2
	s_delay_alu instid0(VALU_DEP_3) | instskip(SKIP_1) | instid1(VALU_DEP_3)
	v_cmp_le_u32_e32 vcc_lo, s38, v16
	v_cndmask_b32_e64 v16, 0, -1, vcc_lo
	v_cmp_le_u32_e32 vcc_lo, s39, v11
	v_cndmask_b32_e64 v17, 0, -1, vcc_lo
	;; [unrolled: 2-line block ×4, first 2 shown]
	v_cmp_eq_u32_e32 vcc_lo, s39, v11
	v_cndmask_b32_e32 v11, v17, v16, vcc_lo
	v_cmp_eq_u32_e32 vcc_lo, s39, v20
	v_add_nc_u64_e32 v[16:17], 2, v[14:15]
	v_cndmask_b32_e32 v13, v21, v13, vcc_lo
	s_delay_alu instid0(VALU_DEP_4) | instskip(NEXT) | instid1(VALU_DEP_2)
	v_cmp_ne_u32_e32 vcc_lo, 0, v11
	v_cmp_ne_u32_e64 s2, 0, v13
	s_delay_alu instid0(VALU_DEP_4) | instskip(NEXT) | instid1(VALU_DEP_1)
	v_dual_cndmask_b32 v11, v19, v17, vcc_lo :: v_dual_cndmask_b32 v13, v18, v16, vcc_lo
	v_dual_cndmask_b32 v14, v14, v13, s2 :: v_dual_mov_b32 v13, v12
	s_delay_alu instid0(VALU_DEP_1) | instskip(NEXT) | instid1(VALU_DEP_1)
	v_dual_cndmask_b32 v11, v15, v11, s2 :: v_dual_bitop2_b32 v14, v14, v12 bitop3:0x14
	v_xor_b32_e32 v15, v11, v12
	s_delay_alu instid0(VALU_DEP_1)
	v_sub_nc_u64_e32 v[12:13], v[14:15], v[12:13]
                                        ; implicit-def: $vgpr14_vgpr15
.LBB1_34:                               ;   in Loop: Header=BB1_28 Depth=2
	s_and_not1_saveexec_b32 s2, s3
	s_cbranch_execz .LBB1_36
; %bb.35:                               ;   in Loop: Header=BB1_28 Depth=2
	v_cvt_f32_u32_e32 v11, s14
	s_sub_co_i32 s3, 0, s14
	s_delay_alu instid0(VALU_DEP_1) | instskip(SKIP_1) | instid1(TRANS32_DEP_1)
	v_rcp_iflag_f32_e32 v11, v11
	v_nop
	v_mul_f32_e32 v11, 0x4f7ffffe, v11
	s_delay_alu instid0(VALU_DEP_1) | instskip(NEXT) | instid1(VALU_DEP_1)
	v_cvt_u32_f32_e32 v11, v11
	v_mul_lo_u32 v12, s3, v11
	s_delay_alu instid0(VALU_DEP_1) | instskip(NEXT) | instid1(VALU_DEP_1)
	v_mul_hi_u32 v12, v11, v12
	v_add_nc_u32_e32 v11, v11, v12
	s_delay_alu instid0(VALU_DEP_1) | instskip(NEXT) | instid1(VALU_DEP_1)
	v_mul_hi_u32 v11, v14, v11
	v_mul_lo_u32 v12, v11, s14
	s_delay_alu instid0(VALU_DEP_1) | instskip(NEXT) | instid1(VALU_DEP_1)
	v_dual_add_nc_u32 v13, 1, v11 :: v_dual_sub_nc_u32 v12, v14, v12
	v_subrev_nc_u32_e32 v14, s14, v12
	v_cmp_le_u32_e32 vcc_lo, s14, v12
	s_delay_alu instid0(VALU_DEP_2) | instskip(NEXT) | instid1(VALU_DEP_1)
	v_dual_cndmask_b32 v12, v12, v14 :: v_dual_cndmask_b32 v11, v11, v13
	v_cmp_le_u32_e32 vcc_lo, s14, v12
	s_delay_alu instid0(VALU_DEP_2) | instskip(NEXT) | instid1(VALU_DEP_1)
	v_add_nc_u32_e32 v13, 1, v11
	v_dual_cndmask_b32 v12, v11, v13 :: v_dual_mov_b32 v13, v1
.LBB1_36:                               ;   in Loop: Header=BB1_28 Depth=2
	s_or_b32 exec_lo, exec_lo, s2
	v_dual_mov_b32 v16, v1 :: v_dual_add_nc_u32 v11, 1, v0
                                        ; implicit-def: $vgpr18_vgpr19
	s_mov_b32 s2, exec_lo
	s_delay_alu instid0(VALU_DEP_1) | instskip(NEXT) | instid1(VALU_DEP_1)
	v_mad_nc_u64_u32 v[14:15], v11, s6, -1
	v_mad_u32 v15, v11, s7, v15
	s_delay_alu instid0(VALU_DEP_1) | instskip(NEXT) | instid1(VALU_DEP_1)
	v_or_b32_e32 v17, s15, v15
	v_cmpx_ne_u64_e32 0, v[16:17]
	s_xor_b32 s3, exec_lo, s2
	s_cbranch_execz .LBB1_38
; %bb.37:                               ;   in Loop: Header=BB1_28 Depth=2
	s_ashr_i32 s36, s15, 31
	s_mov_b32 s55, s10
	s_mov_b32 s37, s36
	;; [unrolled: 1-line block ×3, first 2 shown]
	s_add_nc_u64 s[38:39], s[14:15], s[36:37]
	v_dual_mov_b32 v19, v1 :: v_dual_ashrrev_i32 v16, 31, v15
	s_xor_b64 s[38:39], s[38:39], s[36:37]
	s_delay_alu instid0(SALU_CYCLE_1) | instskip(SKIP_3) | instid1(SALU_CYCLE_1)
	s_cvt_f32_u32 s2, s38
	s_cvt_f32_u32 s4, s39
	s_sub_nc_u64 s[52:53], 0, s[38:39]
	v_mov_b32_e32 v17, v16
	s_fmamk_f32 s2, s4, 0x4f800000, s2
	s_delay_alu instid0(VALU_DEP_1) | instskip(NEXT) | instid1(SALU_CYCLE_2)
	v_add_nc_u64_e32 v[14:15], v[14:15], v[16:17]
	v_s_rcp_f32 s2, s2
	s_delay_alu instid0(VALU_DEP_1) | instskip(NEXT) | instid1(VALU_DEP_2)
	v_dual_mov_b32 v29, v1 :: v_dual_bitop2_b32 v28, v15, v16 bitop3:0x14
	v_xor_b32_e32 v18, v14, v16
	s_delay_alu instid0(TRANS32_DEP_1) | instskip(SKIP_1) | instid1(SALU_CYCLE_2)
	s_mul_f32 s2, s2, 0x5f7ffffc
	v_mov_b32_e32 v33, v1
	s_mul_f32 s4, s2, 0x2f800000
	s_delay_alu instid0(SALU_CYCLE_3) | instskip(NEXT) | instid1(SALU_CYCLE_3)
	s_trunc_f32 s4, s4
	s_fmamk_f32 s2, s4, 0xcf800000, s2
	s_cvt_u32_f32 s51, s4
	s_delay_alu instid0(SALU_CYCLE_2) | instskip(NEXT) | instid1(SALU_CYCLE_3)
	s_cvt_u32_f32 s50, s2
	s_mul_u64 s[56:57], s[52:53], s[50:51]
	s_delay_alu instid0(SALU_CYCLE_1)
	s_mul_hi_u32 s61, s50, s57
	s_mul_i32 s60, s50, s57
	s_mul_hi_u32 s54, s50, s56
	s_mul_i32 s4, s51, s56
	s_add_nc_u64 s[54:55], s[54:55], s[60:61]
	s_mul_hi_u32 s2, s51, s56
	s_mul_hi_u32 s11, s51, s57
	s_add_co_u32 s4, s54, s4
	s_add_co_ci_u32 s58, s55, s2
	s_mul_i32 s56, s51, s57
	s_add_co_ci_u32 s57, s11, 0
	s_delay_alu instid0(SALU_CYCLE_1) | instskip(SKIP_3) | instid1(SALU_CYCLE_1)
	s_add_nc_u64 s[54:55], s[58:59], s[56:57]
	s_mov_b32 s57, s10
	s_add_co_u32 s50, s50, s54
	s_cselect_b32 s2, -1, 0
	s_cmp_lg_u32 s2, 0
	s_add_co_ci_u32 s51, s51, s55
	s_mov_b32 s55, s10
	s_mul_u64 s[52:53], s[52:53], s[50:51]
	s_delay_alu instid0(SALU_CYCLE_1)
	s_mul_hi_u32 s59, s50, s53
	s_mul_i32 s58, s50, s53
	s_mul_hi_u32 s56, s50, s52
	s_mul_i32 s4, s51, s52
	s_add_nc_u64 s[56:57], s[56:57], s[58:59]
	s_mul_hi_u32 s2, s51, s52
	s_mul_hi_u32 s11, s51, s53
	s_add_co_u32 s4, s56, s4
	s_add_co_ci_u32 s54, s57, s2
	s_mul_i32 s52, s51, s53
	s_add_co_ci_u32 s53, s11, 0
	s_delay_alu instid0(SALU_CYCLE_1) | instskip(NEXT) | instid1(SALU_CYCLE_1)
	s_add_nc_u64 s[52:53], s[54:55], s[52:53]
	s_add_co_u32 s2, s50, s52
	s_cselect_b32 s4, -1, 0
	v_mul_hi_u32 v32, v18, s2
	s_cmp_lg_u32 s4, 0
	s_add_co_ci_u32 s54, s51, s53
	s_and_b64 s[50:51], s[2:3], s[18:19]
	v_mul_u64_e32 v[20:21], s[54:55], v[18:19]
	v_mul_u64_e32 v[14:15], s[50:51], v[28:29]
	;; [unrolled: 1-line block ×3, first 2 shown]
	s_delay_alu instid0(VALU_DEP_3) | instskip(NEXT) | instid1(VALU_DEP_1)
	v_add_nc_u64_e32 v[20:21], v[32:33], v[20:21]
	v_add_co_u32 v11, vcc_lo, v20, v14
	s_delay_alu instid0(VALU_DEP_2) | instskip(NEXT) | instid1(VALU_DEP_4)
	v_add_co_ci_u32_e32 v32, vcc_lo, v21, v15, vcc_lo
	v_add_co_ci_u32_e32 v31, vcc_lo, 0, v31, vcc_lo
	s_delay_alu instid0(VALU_DEP_1) | instskip(NEXT) | instid1(VALU_DEP_1)
	v_add_nc_u64_e32 v[14:15], v[32:33], v[30:31]
	v_mul_u64_e32 v[20:21], s[38:39], v[14:15]
	s_delay_alu instid0(VALU_DEP_1) | instskip(NEXT) | instid1(VALU_DEP_2)
	v_sub_nc_u32_e32 v11, v28, v21
	v_sub_co_u32 v17, vcc_lo, v18, v20
	s_delay_alu instid0(VALU_DEP_1) | instskip(NEXT) | instid1(VALU_DEP_3)
	v_sub_co_ci_u32_e64 v27, null, v28, v21, vcc_lo
	v_subrev_co_ci_u32_e64 v11, null, s39, v11, vcc_lo
	s_delay_alu instid0(VALU_DEP_3) | instskip(SKIP_1) | instid1(VALU_DEP_3)
	v_sub_co_u32 v18, s2, v17, s38
	v_add_nc_u64_e32 v[20:21], 1, v[14:15]
	v_subrev_co_ci_u32_e64 v11, null, 0, v11, s2
	s_delay_alu instid0(VALU_DEP_3) | instskip(SKIP_1) | instid1(VALU_DEP_3)
	v_cmp_le_u32_e32 vcc_lo, s38, v18
	v_cndmask_b32_e64 v18, 0, -1, vcc_lo
	v_cmp_le_u32_e32 vcc_lo, s39, v11
	v_cndmask_b32_e64 v19, 0, -1, vcc_lo
	;; [unrolled: 2-line block ×4, first 2 shown]
	v_cmp_eq_u32_e32 vcc_lo, s39, v11
	v_cndmask_b32_e32 v11, v19, v18, vcc_lo
	v_cmp_eq_u32_e32 vcc_lo, s39, v27
	v_add_nc_u64_e32 v[18:19], 2, v[14:15]
	v_cndmask_b32_e32 v17, v28, v17, vcc_lo
	s_delay_alu instid0(VALU_DEP_4) | instskip(NEXT) | instid1(VALU_DEP_2)
	v_cmp_ne_u32_e32 vcc_lo, 0, v11
	v_cmp_ne_u32_e64 s2, 0, v17
	s_delay_alu instid0(VALU_DEP_4) | instskip(NEXT) | instid1(VALU_DEP_1)
	v_dual_cndmask_b32 v11, v21, v19, vcc_lo :: v_dual_cndmask_b32 v17, v20, v18, vcc_lo
	v_dual_cndmask_b32 v11, v15, v11, s2 :: v_dual_bitop2_b32 v16, s36, v16 bitop3:0x14
	s_delay_alu instid0(VALU_DEP_1) | instskip(NEXT) | instid1(VALU_DEP_2)
	v_dual_cndmask_b32 v14, v14, v17, s2 :: v_dual_mov_b32 v17, v16
	v_xor_b32_e32 v15, v11, v16
	s_delay_alu instid0(VALU_DEP_2) | instskip(NEXT) | instid1(VALU_DEP_1)
	v_xor_b32_e32 v14, v14, v16
	v_sub_nc_u64_e32 v[18:19], v[14:15], v[16:17]
                                        ; implicit-def: $vgpr14_vgpr15
.LBB1_38:                               ;   in Loop: Header=BB1_28 Depth=2
	s_and_not1_saveexec_b32 s2, s3
	s_cbranch_execz .LBB1_40
; %bb.39:                               ;   in Loop: Header=BB1_28 Depth=2
	v_cvt_f32_u32_e32 v11, s14
	s_sub_co_i32 s3, 0, s14
	s_delay_alu instid0(VALU_DEP_1) | instskip(SKIP_1) | instid1(TRANS32_DEP_1)
	v_rcp_iflag_f32_e32 v11, v11
	v_nop
	v_mul_f32_e32 v11, 0x4f7ffffe, v11
	s_delay_alu instid0(VALU_DEP_1) | instskip(NEXT) | instid1(VALU_DEP_1)
	v_cvt_u32_f32_e32 v11, v11
	v_mul_lo_u32 v15, s3, v11
	s_delay_alu instid0(VALU_DEP_1) | instskip(NEXT) | instid1(VALU_DEP_1)
	v_mul_hi_u32 v15, v11, v15
	v_add_nc_u32_e32 v11, v11, v15
	s_delay_alu instid0(VALU_DEP_1) | instskip(NEXT) | instid1(VALU_DEP_1)
	v_mul_hi_u32 v11, v14, v11
	v_mul_lo_u32 v15, v11, s14
	s_delay_alu instid0(VALU_DEP_1) | instskip(SKIP_1) | instid1(VALU_DEP_2)
	v_sub_nc_u32_e32 v14, v14, v15
	v_add_nc_u32_e32 v15, 1, v11
	v_subrev_nc_u32_e32 v16, s14, v14
	v_cmp_le_u32_e32 vcc_lo, s14, v14
	s_delay_alu instid0(VALU_DEP_2) | instskip(NEXT) | instid1(VALU_DEP_1)
	v_dual_cndmask_b32 v14, v14, v16 :: v_dual_cndmask_b32 v11, v11, v15
	v_cmp_le_u32_e32 vcc_lo, s14, v14
	s_delay_alu instid0(VALU_DEP_2) | instskip(NEXT) | instid1(VALU_DEP_1)
	v_add_nc_u32_e32 v15, 1, v11
	v_cndmask_b32_e32 v18, v11, v15, vcc_lo
.LBB1_40:                               ;   in Loop: Header=BB1_28 Depth=2
	s_or_b32 exec_lo, exec_lo, s2
	v_mad_nc_u64_u32 v[20:21], v10, s6, v[12:13]
	s_and_not1_b32 vcc_lo, exec_lo, s41
	s_delay_alu instid0(VALU_DEP_1) | instskip(NEXT) | instid1(VALU_DEP_1)
	v_add_nc_u32_e32 v14, v25, v20
	v_ashrrev_i32_e32 v15, 31, v14
	s_cbranch_vccnz .LBB1_26
; %bb.41:                               ;   in Loop: Header=BB1_28 Depth=2
	v_mad_nc_u64_u32 v[16:17], s26, v20, v[4:5]
	v_dual_mov_b32 v18, 0xff800000 :: v_dual_sub_nc_u32 v13, v18, v20
	s_mov_b32 s11, 0
	s_delay_alu instid0(VALU_DEP_2) | instskip(SKIP_1) | instid1(VALU_DEP_3)
	v_mad_u32 v11, s27, v20, v17
	v_dual_ashrrev_i32 v17, 31, v20 :: v_dual_add_nc_u32 v10, v26, v10
	v_add_nc_u32_e32 v19, 1, v13
	s_delay_alu instid0(VALU_DEP_2) | instskip(NEXT) | instid1(VALU_DEP_2)
	v_mad_u32 v20, s6, v10, v12
	v_cmp_lt_i32_e32 vcc_lo, 0, v19
	s_delay_alu instid0(VALU_DEP_4)
	v_mad_u32 v17, s26, v17, v11
	s_branch .LBB1_44
.LBB1_42:                               ;   in Loop: Header=BB1_44 Depth=3
	s_or_b32 exec_lo, exec_lo, s37
.LBB1_43:                               ;   in Loop: Header=BB1_44 Depth=3
	s_delay_alu instid0(SALU_CYCLE_1) | instskip(NEXT) | instid1(VALU_DEP_1)
	s_or_b32 exec_lo, exec_lo, s36
	v_add_nc_u64_e32 v[16:17], s[28:29], v[16:17]
	s_delay_alu instid0(VALU_DEP_2) | instskip(SKIP_1) | instid1(SALU_CYCLE_1)
	v_add_nc_u32_e32 v20, s47, v20
	s_add_co_i32 s11, s11, 1
	s_cmp_lt_i32 s11, s33
	s_cbranch_scc0 .LBB1_27
.LBB1_44:                               ;   Parent Loop BB1_12 Depth=1
                                        ;     Parent Loop BB1_28 Depth=2
                                        ; =>    This Loop Header: Depth=3
                                        ;         Child Loop BB1_47 Depth 4
                                        ;           Child Loop BB1_49 Depth 5
	s_and_saveexec_b32 s36, s1
	s_cbranch_execz .LBB1_43
; %bb.45:                               ;   in Loop: Header=BB1_44 Depth=3
	s_delay_alu instid0(VALU_DEP_1) | instskip(NEXT) | instid1(VALU_DEP_2)
	v_mov_b64_e32 v[10:11], v[16:17]
	v_mov_b32_e32 v21, v20
	s_mov_b32 s37, 0
	s_mov_b32 s38, 0
	s_branch .LBB1_47
.LBB1_46:                               ;   in Loop: Header=BB1_47 Depth=4
	s_or_b32 exec_lo, exec_lo, s39
	s_add_co_i32 s38, s38, 1
	v_add_nc_u64_e32 v[10:11], s[24:25], v[10:11]
	v_cmp_ge_i32_e64 s2, s38, v3
	v_add_nc_u32_e32 v21, s6, v21
	s_or_b32 s37, s2, s37
	s_delay_alu instid0(SALU_CYCLE_1)
	s_and_not1_b32 exec_lo, exec_lo, s37
	s_cbranch_execz .LBB1_42
.LBB1_47:                               ;   Parent Loop BB1_12 Depth=1
                                        ;     Parent Loop BB1_28 Depth=2
                                        ;       Parent Loop BB1_44 Depth=3
                                        ; =>      This Loop Header: Depth=4
                                        ;           Child Loop BB1_49 Depth 5
	s_and_saveexec_b32 s39, vcc_lo
	s_cbranch_execz .LBB1_46
; %bb.48:                               ;   in Loop: Header=BB1_47 Depth=4
	v_mov_b64_e32 v[12:13], v[10:11]
	s_mov_b32 s50, 0
	s_mov_b32 s51, 0
.LBB1_49:                               ;   Parent Loop BB1_12 Depth=1
                                        ;     Parent Loop BB1_28 Depth=2
                                        ;       Parent Loop BB1_44 Depth=3
                                        ;         Parent Loop BB1_47 Depth=4
                                        ; =>        This Inner Loop Header: Depth=5
	global_load_b32 v27, v[12:13], off
	s_wait_xcnt 0x0
	v_add_nc_u64_e32 v[12:13], s[26:27], v[12:13]
	s_wait_loadcnt 0x0
	v_cmp_gt_f32_e64 s2, v27, v18
	v_cmp_u_f32_e64 s3, v27, v27
	s_or_b32 s2, s2, s3
	s_delay_alu instid0(SALU_CYCLE_1) | instskip(SKIP_1) | instid1(SALU_CYCLE_1)
	v_dual_add_nc_u32 v28, s51, v21 :: v_dual_cndmask_b32 v18, v18, v27, s2
	s_add_co_i32 s51, s51, 1
	v_cmp_ge_i32_e64 s4, s51, v19
	s_delay_alu instid0(VALU_DEP_2) | instskip(SKIP_1) | instid1(VALU_DEP_1)
	v_dual_ashrrev_i32 v29, 31, v28 :: v_dual_cndmask_b32 v14, v14, v28, s2
	s_or_b32 s50, s4, s50
	v_cndmask_b32_e64 v15, v15, v29, s2
	s_and_not1_b32 exec_lo, exec_lo, s50
	s_cbranch_execnz .LBB1_49
; %bb.50:                               ;   in Loop: Header=BB1_47 Depth=4
	s_or_b32 exec_lo, exec_lo, s50
	s_branch .LBB1_46
.LBB1_51:
	s_endpgm
.LBB1_52:
                                        ; implicit-def: $sgpr16_sgpr17
	s_branch .LBB1_2
.LBB1_53:
                                        ; implicit-def: $sgpr20_sgpr21
	s_branch .LBB1_5
.LBB1_54:
                                        ; implicit-def: $sgpr22_sgpr23
	s_load_b32 s7, s[0:1], 0x64
	s_branch .LBB1_8
	.section	.rodata,"a",@progbits
	.p2align	6, 0x0
	.amdhsa_kernel _ZN2at6native12_GLOBAL__N_115adaptivemaxpoolIfEEvPKT_PS3_Pliiiiiilllll
		.amdhsa_group_segment_fixed_size 0
		.amdhsa_private_segment_fixed_size 0
		.amdhsa_kernarg_size 344
		.amdhsa_user_sgpr_count 2
		.amdhsa_user_sgpr_dispatch_ptr 0
		.amdhsa_user_sgpr_queue_ptr 0
		.amdhsa_user_sgpr_kernarg_segment_ptr 1
		.amdhsa_user_sgpr_dispatch_id 0
		.amdhsa_user_sgpr_kernarg_preload_length 0
		.amdhsa_user_sgpr_kernarg_preload_offset 0
		.amdhsa_user_sgpr_private_segment_size 0
		.amdhsa_wavefront_size32 1
		.amdhsa_uses_dynamic_stack 0
		.amdhsa_enable_private_segment 0
		.amdhsa_system_sgpr_workgroup_id_x 1
		.amdhsa_system_sgpr_workgroup_id_y 1
		.amdhsa_system_sgpr_workgroup_id_z 0
		.amdhsa_system_sgpr_workgroup_info 0
		.amdhsa_system_vgpr_workitem_id 1
		.amdhsa_next_free_vgpr 34
		.amdhsa_next_free_sgpr 62
		.amdhsa_named_barrier_count 0
		.amdhsa_reserve_vcc 1
		.amdhsa_float_round_mode_32 0
		.amdhsa_float_round_mode_16_64 0
		.amdhsa_float_denorm_mode_32 3
		.amdhsa_float_denorm_mode_16_64 3
		.amdhsa_fp16_overflow 0
		.amdhsa_memory_ordered 1
		.amdhsa_forward_progress 1
		.amdhsa_inst_pref_size 58
		.amdhsa_round_robin_scheduling 0
		.amdhsa_exception_fp_ieee_invalid_op 0
		.amdhsa_exception_fp_denorm_src 0
		.amdhsa_exception_fp_ieee_div_zero 0
		.amdhsa_exception_fp_ieee_overflow 0
		.amdhsa_exception_fp_ieee_underflow 0
		.amdhsa_exception_fp_ieee_inexact 0
		.amdhsa_exception_int_div_zero 0
	.end_amdhsa_kernel
	.section	.text._ZN2at6native12_GLOBAL__N_115adaptivemaxpoolIfEEvPKT_PS3_Pliiiiiilllll,"axG",@progbits,_ZN2at6native12_GLOBAL__N_115adaptivemaxpoolIfEEvPKT_PS3_Pliiiiiilllll,comdat
.Lfunc_end1:
	.size	_ZN2at6native12_GLOBAL__N_115adaptivemaxpoolIfEEvPKT_PS3_Pliiiiiilllll, .Lfunc_end1-_ZN2at6native12_GLOBAL__N_115adaptivemaxpoolIfEEvPKT_PS3_Pliiiiiilllll
                                        ; -- End function
	.set _ZN2at6native12_GLOBAL__N_115adaptivemaxpoolIfEEvPKT_PS3_Pliiiiiilllll.num_vgpr, 34
	.set _ZN2at6native12_GLOBAL__N_115adaptivemaxpoolIfEEvPKT_PS3_Pliiiiiilllll.num_agpr, 0
	.set _ZN2at6native12_GLOBAL__N_115adaptivemaxpoolIfEEvPKT_PS3_Pliiiiiilllll.numbered_sgpr, 62
	.set _ZN2at6native12_GLOBAL__N_115adaptivemaxpoolIfEEvPKT_PS3_Pliiiiiilllll.num_named_barrier, 0
	.set _ZN2at6native12_GLOBAL__N_115adaptivemaxpoolIfEEvPKT_PS3_Pliiiiiilllll.private_seg_size, 0
	.set _ZN2at6native12_GLOBAL__N_115adaptivemaxpoolIfEEvPKT_PS3_Pliiiiiilllll.uses_vcc, 1
	.set _ZN2at6native12_GLOBAL__N_115adaptivemaxpoolIfEEvPKT_PS3_Pliiiiiilllll.uses_flat_scratch, 0
	.set _ZN2at6native12_GLOBAL__N_115adaptivemaxpoolIfEEvPKT_PS3_Pliiiiiilllll.has_dyn_sized_stack, 0
	.set _ZN2at6native12_GLOBAL__N_115adaptivemaxpoolIfEEvPKT_PS3_Pliiiiiilllll.has_recursion, 0
	.set _ZN2at6native12_GLOBAL__N_115adaptivemaxpoolIfEEvPKT_PS3_Pliiiiiilllll.has_indirect_call, 0
	.section	.AMDGPU.csdata,"",@progbits
; Kernel info:
; codeLenInByte = 7332
; TotalNumSgprs: 64
; NumVgprs: 34
; ScratchSize: 0
; MemoryBound: 0
; FloatMode: 240
; IeeeMode: 1
; LDSByteSize: 0 bytes/workgroup (compile time only)
; SGPRBlocks: 0
; VGPRBlocks: 2
; NumSGPRsForWavesPerEU: 64
; NumVGPRsForWavesPerEU: 34
; NamedBarCnt: 0
; Occupancy: 16
; WaveLimiterHint : 0
; COMPUTE_PGM_RSRC2:SCRATCH_EN: 0
; COMPUTE_PGM_RSRC2:USER_SGPR: 2
; COMPUTE_PGM_RSRC2:TRAP_HANDLER: 0
; COMPUTE_PGM_RSRC2:TGID_X_EN: 1
; COMPUTE_PGM_RSRC2:TGID_Y_EN: 1
; COMPUTE_PGM_RSRC2:TGID_Z_EN: 0
; COMPUTE_PGM_RSRC2:TIDIG_COMP_CNT: 1
	.section	.text._ZN2at6native12_GLOBAL__N_115adaptivemaxpoolIN3c104HalfEEEvPKT_PS5_Pliiiiiilllll,"axG",@progbits,_ZN2at6native12_GLOBAL__N_115adaptivemaxpoolIN3c104HalfEEEvPKT_PS5_Pliiiiiilllll,comdat
	.globl	_ZN2at6native12_GLOBAL__N_115adaptivemaxpoolIN3c104HalfEEEvPKT_PS5_Pliiiiiilllll ; -- Begin function _ZN2at6native12_GLOBAL__N_115adaptivemaxpoolIN3c104HalfEEEvPKT_PS5_Pliiiiiilllll
	.p2align	8
	.type	_ZN2at6native12_GLOBAL__N_115adaptivemaxpoolIN3c104HalfEEEvPKT_PS5_Pliiiiiilllll,@function
_ZN2at6native12_GLOBAL__N_115adaptivemaxpoolIN3c104HalfEEEvPKT_PS5_Pliiiiiilllll: ; @_ZN2at6native12_GLOBAL__N_115adaptivemaxpoolIN3c104HalfEEEvPKT_PS5_Pliiiiiilllll
; %bb.0:
	s_clause 0x2
	s_load_b64 s[2:3], s[0:1], 0x50
	s_load_b128 s[4:7], s[0:1], 0x18
	s_load_b64 s[8:9], s[0:1], 0x28
	s_bfe_u32 s10, ttmp6, 0x4000c
	s_and_b32 s11, ttmp6, 15
	s_add_co_i32 s10, s10, 1
	s_getreg_b32 s19, hwreg(HW_REG_IB_STS2, 6, 4)
	s_mul_i32 s10, ttmp9, s10
	s_mov_b32 s13, 0
	s_add_co_i32 s11, s11, s10
	s_cmp_eq_u32 s19, 0
	s_cselect_b32 s12, ttmp9, s11
	s_wait_kmcnt 0x0
	s_add_nc_u64 s[2:3], s[2:3], s[12:13]
	s_ashr_i32 s11, s7, 31
	s_mov_b32 s10, s7
	s_delay_alu instid0(SALU_CYCLE_1) | instskip(NEXT) | instid1(SALU_CYCLE_1)
	s_or_b64 s[14:15], s[2:3], s[10:11]
	s_and_b64 s[14:15], s[14:15], 0xffffffff00000000
	s_delay_alu instid0(SALU_CYCLE_1)
	s_cmp_lg_u64 s[14:15], 0
	s_cbranch_scc0 .LBB2_52
; %bb.1:
	s_ashr_i32 s14, s11, 31
	s_delay_alu instid0(SALU_CYCLE_1) | instskip(NEXT) | instid1(SALU_CYCLE_1)
	s_mov_b32 s15, s14
	s_add_nc_u64 s[16:17], s[10:11], s[14:15]
	s_delay_alu instid0(SALU_CYCLE_1) | instskip(NEXT) | instid1(SALU_CYCLE_1)
	s_xor_b64 s[16:17], s[16:17], s[14:15]
	s_cvt_f32_u32 s7, s16
	s_cvt_f32_u32 s12, s17
	s_sub_nc_u64 s[22:23], 0, s[16:17]
	s_delay_alu instid0(SALU_CYCLE_2) | instskip(NEXT) | instid1(SALU_CYCLE_3)
	s_fmamk_f32 s7, s12, 0x4f800000, s7
	v_s_rcp_f32 s7, s7
	s_delay_alu instid0(TRANS32_DEP_1) | instskip(NEXT) | instid1(SALU_CYCLE_3)
	s_mul_f32 s7, s7, 0x5f7ffffc
	s_mul_f32 s12, s7, 0x2f800000
	s_delay_alu instid0(SALU_CYCLE_3) | instskip(NEXT) | instid1(SALU_CYCLE_3)
	s_trunc_f32 s12, s12
	s_fmamk_f32 s7, s12, 0xcf800000, s7
	s_cvt_u32_f32 s21, s12
	s_delay_alu instid0(SALU_CYCLE_2) | instskip(NEXT) | instid1(SALU_CYCLE_3)
	s_cvt_u32_f32 s20, s7
	s_mul_u64 s[24:25], s[22:23], s[20:21]
	s_delay_alu instid0(SALU_CYCLE_1)
	s_mul_hi_u32 s27, s20, s25
	s_mul_i32 s26, s20, s25
	s_mul_hi_u32 s12, s20, s24
	s_mul_i32 s18, s21, s24
	s_add_nc_u64 s[26:27], s[12:13], s[26:27]
	s_mul_hi_u32 s7, s21, s24
	s_mul_hi_u32 s28, s21, s25
	s_add_co_u32 s12, s26, s18
	s_add_co_ci_u32 s12, s27, s7
	s_mul_i32 s24, s21, s25
	s_add_co_ci_u32 s25, s28, 0
	s_delay_alu instid0(SALU_CYCLE_1) | instskip(NEXT) | instid1(SALU_CYCLE_1)
	s_add_nc_u64 s[24:25], s[12:13], s[24:25]
	s_add_co_u32 s20, s20, s24
	s_cselect_b32 s7, -1, 0
	s_delay_alu instid0(SALU_CYCLE_1) | instskip(SKIP_1) | instid1(SALU_CYCLE_1)
	s_cmp_lg_u32 s7, 0
	s_add_co_ci_u32 s21, s21, s25
	s_mul_u64 s[22:23], s[22:23], s[20:21]
	s_delay_alu instid0(SALU_CYCLE_1)
	s_mul_hi_u32 s25, s20, s23
	s_mul_i32 s24, s20, s23
	s_mul_hi_u32 s12, s20, s22
	s_mul_i32 s18, s21, s22
	s_add_nc_u64 s[24:25], s[12:13], s[24:25]
	s_mul_hi_u32 s7, s21, s22
	s_mul_hi_u32 s26, s21, s23
	s_add_co_u32 s12, s24, s18
	s_add_co_ci_u32 s12, s25, s7
	s_mul_i32 s22, s21, s23
	s_add_co_ci_u32 s23, s26, 0
	s_delay_alu instid0(SALU_CYCLE_1) | instskip(NEXT) | instid1(SALU_CYCLE_1)
	s_add_nc_u64 s[22:23], s[12:13], s[22:23]
	s_add_co_u32 s7, s20, s22
	s_cselect_b32 s12, -1, 0
	s_delay_alu instid0(SALU_CYCLE_1) | instskip(SKIP_2) | instid1(SALU_CYCLE_1)
	s_cmp_lg_u32 s12, 0
	s_add_co_ci_u32 s18, s21, s23
	s_ashr_i32 s20, s3, 31
	s_mov_b32 s21, s20
	s_delay_alu instid0(SALU_CYCLE_1) | instskip(NEXT) | instid1(SALU_CYCLE_1)
	s_add_nc_u64 s[22:23], s[2:3], s[20:21]
	s_xor_b64 s[22:23], s[22:23], s[20:21]
	s_delay_alu instid0(SALU_CYCLE_1)
	s_mul_hi_u32 s25, s22, s18
	s_mul_i32 s24, s22, s18
	s_mul_hi_u32 s12, s22, s7
	s_mul_hi_u32 s28, s23, s7
	s_mul_i32 s7, s23, s7
	s_add_nc_u64 s[24:25], s[12:13], s[24:25]
	s_mul_hi_u32 s27, s23, s18
	s_add_co_u32 s7, s24, s7
	s_add_co_ci_u32 s12, s25, s28
	s_mul_i32 s26, s23, s18
	s_add_co_ci_u32 s27, s27, 0
	s_delay_alu instid0(SALU_CYCLE_1) | instskip(NEXT) | instid1(SALU_CYCLE_1)
	s_add_nc_u64 s[24:25], s[12:13], s[26:27]
	s_and_b64 s[26:27], s[24:25], 0xffffffff00000000
	s_delay_alu instid0(SALU_CYCLE_1) | instskip(NEXT) | instid1(SALU_CYCLE_1)
	s_or_b32 s26, s26, s24
	s_mul_u64 s[24:25], s[16:17], s[26:27]
	s_add_nc_u64 s[28:29], s[26:27], 1
	s_sub_co_u32 s7, s22, s24
	s_cselect_b32 s12, -1, 0
	s_sub_co_i32 s18, s23, s25
	s_cmp_lg_u32 s12, 0
	s_add_nc_u64 s[30:31], s[26:27], 2
	s_sub_co_ci_u32 s18, s18, s17
	s_sub_co_u32 s22, s7, s16
	s_cselect_b32 s24, -1, 0
	s_delay_alu instid0(SALU_CYCLE_1) | instskip(SKIP_1) | instid1(SALU_CYCLE_1)
	s_cmp_lg_u32 s24, 0
	s_sub_co_ci_u32 s18, s18, 0
	s_cmp_ge_u32 s18, s17
	s_cselect_b32 s24, -1, 0
	s_cmp_ge_u32 s22, s16
	s_cselect_b32 s22, -1, 0
	s_cmp_eq_u32 s18, s17
	s_cselect_b32 s18, s22, s24
	s_delay_alu instid0(SALU_CYCLE_1) | instskip(SKIP_4) | instid1(SALU_CYCLE_1)
	s_cmp_lg_u32 s18, 0
	s_cselect_b32 s18, s30, s28
	s_cselect_b32 s22, s31, s29
	s_cmp_lg_u32 s12, 0
	s_sub_co_ci_u32 s12, s23, s25
	s_cmp_ge_u32 s12, s17
	s_cselect_b32 s23, -1, 0
	s_cmp_ge_u32 s7, s16
	s_cselect_b32 s7, -1, 0
	s_cmp_eq_u32 s12, s17
	s_cselect_b32 s7, s7, s23
	s_delay_alu instid0(SALU_CYCLE_1) | instskip(SKIP_3) | instid1(SALU_CYCLE_1)
	s_cmp_lg_u32 s7, 0
	s_cselect_b32 s17, s22, s27
	s_cselect_b32 s16, s18, s26
	s_xor_b64 s[14:15], s[20:21], s[14:15]
	s_xor_b64 s[16:17], s[16:17], s[14:15]
	s_delay_alu instid0(SALU_CYCLE_1)
	s_sub_nc_u64 s[16:17], s[16:17], s[14:15]
	s_and_not1_b32 vcc_lo, exec_lo, s13
	s_cbranch_vccnz .LBB2_3
.LBB2_2:
	v_cvt_f32_u32_e32 v1, s10
	s_sub_co_i32 s12, 0, s10
	s_mov_b32 s17, 0
	s_delay_alu instid0(VALU_DEP_1) | instskip(SKIP_1) | instid1(TRANS32_DEP_1)
	v_rcp_iflag_f32_e32 v1, v1
	v_nop
	v_mul_f32_e32 v1, 0x4f7ffffe, v1
	s_delay_alu instid0(VALU_DEP_1) | instskip(NEXT) | instid1(VALU_DEP_1)
	v_cvt_u32_f32_e32 v1, v1
	v_readfirstlane_b32 s7, v1
	s_mul_i32 s12, s12, s7
	s_delay_alu instid0(SALU_CYCLE_1) | instskip(NEXT) | instid1(SALU_CYCLE_1)
	s_mul_hi_u32 s12, s7, s12
	s_add_co_i32 s7, s7, s12
	s_delay_alu instid0(SALU_CYCLE_1) | instskip(NEXT) | instid1(SALU_CYCLE_1)
	s_mul_hi_u32 s7, s2, s7
	s_mul_i32 s12, s7, s10
	s_add_co_i32 s13, s7, 1
	s_sub_co_i32 s12, s2, s12
	s_delay_alu instid0(SALU_CYCLE_1)
	s_sub_co_i32 s14, s12, s10
	s_cmp_ge_u32 s12, s10
	s_cselect_b32 s7, s13, s7
	s_cselect_b32 s12, s14, s12
	s_add_co_i32 s13, s7, 1
	s_cmp_ge_u32 s12, s10
	s_cselect_b32 s16, s13, s7
.LBB2_3:
	s_abs_i32 s7, s10
	s_mov_b32 s25, 0
	s_cvt_f32_u32 s12, s7
	s_sub_co_i32 s15, 0, s7
	s_delay_alu instid0(SALU_CYCLE_2) | instskip(SKIP_1) | instid1(TRANS32_DEP_1)
	v_rcp_iflag_f32_e32 v1, s12
	v_nop
	v_readfirstlane_b32 s12, v1
	s_mul_f32 s12, s12, 0x4f7ffffe
	s_delay_alu instid0(SALU_CYCLE_3) | instskip(SKIP_1) | instid1(SALU_CYCLE_1)
	s_cvt_u32_f32 s14, s12
	s_mul_u64 s[12:13], s[16:17], s[10:11]
	s_sub_nc_u64 s[12:13], s[2:3], s[12:13]
	s_delay_alu instid0(SALU_CYCLE_1)
	s_mul_i32 s15, s15, s14
	s_abs_i32 s18, s12
	s_mul_hi_u32 s15, s14, s15
	s_xor_b32 s20, s12, s10
	s_add_co_i32 s14, s14, s15
	s_ashr_i32 s15, s4, 31
	s_mul_hi_u32 s14, s18, s14
	s_ashr_i32 s20, s20, 31
	s_mul_i32 s21, s14, s7
	s_delay_alu instid0(SALU_CYCLE_1)
	s_sub_co_i32 s18, s18, s21
	s_add_co_i32 s21, s14, 1
	s_sub_co_i32 s22, s18, s7
	s_cmp_ge_u32 s18, s7
	s_cselect_b32 s14, s21, s14
	s_cselect_b32 s18, s22, s18
	s_add_co_i32 s21, s14, 1
	s_cmp_ge_u32 s18, s7
	s_cselect_b32 s7, s21, s14
	s_mov_b32 s14, s4
	s_xor_b32 s7, s7, s20
	s_delay_alu instid0(SALU_CYCLE_1) | instskip(NEXT) | instid1(SALU_CYCLE_1)
	s_sub_co_i32 s18, s7, s20
	s_mul_i32 s7, s18, s10
	s_delay_alu instid0(SALU_CYCLE_1) | instskip(NEXT) | instid1(SALU_CYCLE_1)
	s_sub_co_i32 s20, s12, s7
	s_ashr_i32 s21, s20, 31
	s_delay_alu instid0(SALU_CYCLE_1) | instskip(NEXT) | instid1(SALU_CYCLE_1)
	s_mul_u64 s[22:23], s[20:21], s[14:15]
	s_or_b64 s[20:21], s[22:23], s[10:11]
	s_delay_alu instid0(SALU_CYCLE_1) | instskip(NEXT) | instid1(SALU_CYCLE_1)
	s_and_b64 s[20:21], s[20:21], 0xffffffff00000000
	s_cmp_lg_u64 s[20:21], 0
	s_cbranch_scc0 .LBB2_53
; %bb.4:
	s_ashr_i32 s20, s11, 31
	s_delay_alu instid0(SALU_CYCLE_1) | instskip(NEXT) | instid1(SALU_CYCLE_1)
	s_mov_b32 s21, s20
	s_add_nc_u64 s[26:27], s[10:11], s[20:21]
	s_delay_alu instid0(SALU_CYCLE_1) | instskip(NEXT) | instid1(SALU_CYCLE_1)
	s_xor_b64 s[26:27], s[26:27], s[20:21]
	s_cvt_f32_u32 s7, s26
	s_cvt_f32_u32 s24, s27
	s_sub_nc_u64 s[30:31], 0, s[26:27]
	s_delay_alu instid0(SALU_CYCLE_2) | instskip(NEXT) | instid1(SALU_CYCLE_3)
	s_fmamk_f32 s7, s24, 0x4f800000, s7
	v_s_rcp_f32 s7, s7
	s_delay_alu instid0(TRANS32_DEP_1) | instskip(NEXT) | instid1(SALU_CYCLE_3)
	s_mul_f32 s7, s7, 0x5f7ffffc
	s_mul_f32 s24, s7, 0x2f800000
	s_delay_alu instid0(SALU_CYCLE_3) | instskip(NEXT) | instid1(SALU_CYCLE_3)
	s_trunc_f32 s24, s24
	s_fmamk_f32 s7, s24, 0xcf800000, s7
	s_cvt_u32_f32 s29, s24
	s_delay_alu instid0(SALU_CYCLE_2) | instskip(NEXT) | instid1(SALU_CYCLE_3)
	s_cvt_u32_f32 s28, s7
	s_mul_u64 s[34:35], s[30:31], s[28:29]
	s_delay_alu instid0(SALU_CYCLE_1)
	s_mul_hi_u32 s37, s28, s35
	s_mul_i32 s36, s28, s35
	s_mul_hi_u32 s24, s28, s34
	s_mul_i32 s33, s29, s34
	s_add_nc_u64 s[36:37], s[24:25], s[36:37]
	s_mul_hi_u32 s7, s29, s34
	s_mul_hi_u32 s38, s29, s35
	s_add_co_u32 s24, s36, s33
	s_add_co_ci_u32 s24, s37, s7
	s_mul_i32 s34, s29, s35
	s_add_co_ci_u32 s35, s38, 0
	s_delay_alu instid0(SALU_CYCLE_1) | instskip(NEXT) | instid1(SALU_CYCLE_1)
	s_add_nc_u64 s[34:35], s[24:25], s[34:35]
	s_add_co_u32 s28, s28, s34
	s_cselect_b32 s7, -1, 0
	s_delay_alu instid0(SALU_CYCLE_1) | instskip(SKIP_1) | instid1(SALU_CYCLE_1)
	s_cmp_lg_u32 s7, 0
	s_add_co_ci_u32 s29, s29, s35
	s_mul_u64 s[30:31], s[30:31], s[28:29]
	s_delay_alu instid0(SALU_CYCLE_1)
	s_mul_hi_u32 s35, s28, s31
	s_mul_i32 s34, s28, s31
	s_mul_hi_u32 s24, s28, s30
	s_mul_i32 s33, s29, s30
	s_add_nc_u64 s[34:35], s[24:25], s[34:35]
	s_mul_hi_u32 s7, s29, s30
	s_mul_hi_u32 s36, s29, s31
	s_add_co_u32 s24, s34, s33
	s_add_co_ci_u32 s24, s35, s7
	s_mul_i32 s30, s29, s31
	s_add_co_ci_u32 s31, s36, 0
	s_delay_alu instid0(SALU_CYCLE_1) | instskip(NEXT) | instid1(SALU_CYCLE_1)
	s_add_nc_u64 s[30:31], s[24:25], s[30:31]
	s_add_co_u32 s7, s28, s30
	s_cselect_b32 s24, -1, 0
	s_delay_alu instid0(SALU_CYCLE_1) | instskip(SKIP_2) | instid1(SALU_CYCLE_1)
	s_cmp_lg_u32 s24, 0
	s_add_co_ci_u32 s33, s29, s31
	s_ashr_i32 s28, s23, 31
	s_mov_b32 s29, s28
	s_delay_alu instid0(SALU_CYCLE_1) | instskip(NEXT) | instid1(SALU_CYCLE_1)
	s_add_nc_u64 s[30:31], s[22:23], s[28:29]
	s_xor_b64 s[30:31], s[30:31], s[28:29]
	s_delay_alu instid0(SALU_CYCLE_1)
	s_mul_hi_u32 s35, s30, s33
	s_mul_i32 s34, s30, s33
	s_mul_hi_u32 s24, s30, s7
	s_mul_hi_u32 s37, s31, s7
	s_mul_i32 s7, s31, s7
	s_add_nc_u64 s[34:35], s[24:25], s[34:35]
	s_mul_hi_u32 s23, s31, s33
	s_add_co_u32 s7, s34, s7
	s_add_co_ci_u32 s24, s35, s37
	s_mul_i32 s36, s31, s33
	s_add_co_ci_u32 s37, s23, 0
	s_delay_alu instid0(SALU_CYCLE_1) | instskip(NEXT) | instid1(SALU_CYCLE_1)
	s_add_nc_u64 s[34:35], s[24:25], s[36:37]
	s_and_b64 s[36:37], s[34:35], 0xffffffff00000000
	s_delay_alu instid0(SALU_CYCLE_1) | instskip(NEXT) | instid1(SALU_CYCLE_1)
	s_or_b32 s36, s36, s34
	s_mul_u64 s[34:35], s[26:27], s[36:37]
	s_add_nc_u64 s[38:39], s[36:37], 1
	s_sub_co_u32 s7, s30, s34
	s_cselect_b32 s23, -1, 0
	s_sub_co_i32 s24, s31, s35
	s_cmp_lg_u32 s23, 0
	s_add_nc_u64 s[40:41], s[36:37], 2
	s_sub_co_ci_u32 s24, s24, s27
	s_sub_co_u32 s30, s7, s26
	s_cselect_b32 s33, -1, 0
	s_delay_alu instid0(SALU_CYCLE_1) | instskip(SKIP_1) | instid1(SALU_CYCLE_1)
	s_cmp_lg_u32 s33, 0
	s_sub_co_ci_u32 s24, s24, 0
	s_cmp_ge_u32 s24, s27
	s_cselect_b32 s33, -1, 0
	s_cmp_ge_u32 s30, s26
	s_cselect_b32 s30, -1, 0
	s_cmp_eq_u32 s24, s27
	s_cselect_b32 s24, s30, s33
	s_delay_alu instid0(SALU_CYCLE_1) | instskip(SKIP_4) | instid1(SALU_CYCLE_1)
	s_cmp_lg_u32 s24, 0
	s_cselect_b32 s24, s40, s38
	s_cselect_b32 s30, s41, s39
	s_cmp_lg_u32 s23, 0
	s_sub_co_ci_u32 s23, s31, s35
	s_cmp_ge_u32 s23, s27
	s_cselect_b32 s31, -1, 0
	s_cmp_ge_u32 s7, s26
	s_cselect_b32 s7, -1, 0
	s_cmp_eq_u32 s23, s27
	s_cselect_b32 s7, s7, s31
	s_delay_alu instid0(SALU_CYCLE_1) | instskip(SKIP_3) | instid1(SALU_CYCLE_1)
	s_cmp_lg_u32 s7, 0
	s_cselect_b32 s27, s30, s37
	s_cselect_b32 s26, s24, s36
	s_xor_b64 s[20:21], s[28:29], s[20:21]
	s_xor_b64 s[26:27], s[26:27], s[20:21]
	s_delay_alu instid0(SALU_CYCLE_1)
	s_sub_nc_u64 s[20:21], s[26:27], s[20:21]
	s_and_not1_b32 vcc_lo, exec_lo, s25
	s_cbranch_vccnz .LBB2_6
.LBB2_5:
	v_cvt_f32_u32_e32 v1, s10
	s_sub_co_i32 s20, 0, s10
	s_delay_alu instid0(VALU_DEP_1) | instskip(SKIP_1) | instid1(TRANS32_DEP_1)
	v_rcp_iflag_f32_e32 v1, v1
	v_nop
	v_mul_f32_e32 v1, 0x4f7ffffe, v1
	s_delay_alu instid0(VALU_DEP_1) | instskip(NEXT) | instid1(VALU_DEP_1)
	v_cvt_u32_f32_e32 v1, v1
	v_readfirstlane_b32 s7, v1
	s_mul_i32 s20, s20, s7
	s_delay_alu instid0(SALU_CYCLE_1) | instskip(NEXT) | instid1(SALU_CYCLE_1)
	s_mul_hi_u32 s20, s7, s20
	s_add_co_i32 s7, s7, s20
	s_delay_alu instid0(SALU_CYCLE_1) | instskip(NEXT) | instid1(SALU_CYCLE_1)
	s_mul_hi_u32 s7, s22, s7
	s_mul_i32 s20, s7, s10
	s_add_co_i32 s21, s7, 1
	s_sub_co_i32 s20, s22, s20
	s_delay_alu instid0(SALU_CYCLE_1)
	s_sub_co_i32 s22, s20, s10
	s_cmp_ge_u32 s20, s10
	s_cselect_b32 s7, s21, s7
	s_cselect_b32 s20, s22, s20
	s_add_co_i32 s22, s7, 1
	s_cmp_ge_u32 s20, s10
	s_mov_b32 s21, 0
	s_cselect_b32 s20, s22, s7
.LBB2_6:
	s_add_nc_u64 s[12:13], s[12:13], 1
	s_delay_alu instid0(SALU_CYCLE_1) | instskip(NEXT) | instid1(SALU_CYCLE_1)
	s_mul_u64 s[12:13], s[12:13], s[14:15]
	s_add_nc_u64 s[12:13], s[12:13], -1
	s_delay_alu instid0(SALU_CYCLE_1) | instskip(NEXT) | instid1(SALU_CYCLE_1)
	s_or_b64 s[22:23], s[12:13], s[10:11]
	s_and_b64 s[22:23], s[22:23], 0xffffffff00000000
	s_delay_alu instid0(SALU_CYCLE_1)
	s_cmp_lg_u64 s[22:23], 0
	s_cbranch_scc0 .LBB2_54
; %bb.7:
	s_ashr_i32 s22, s11, 31
	s_delay_alu instid0(SALU_CYCLE_1) | instskip(NEXT) | instid1(SALU_CYCLE_1)
	s_mov_b32 s23, s22
	s_add_nc_u64 s[24:25], s[10:11], s[22:23]
	s_delay_alu instid0(SALU_CYCLE_1) | instskip(SKIP_4) | instid1(SALU_CYCLE_2)
	s_xor_b64 s[26:27], s[24:25], s[22:23]
	s_mov_b32 s25, 0
	s_cvt_f32_u32 s7, s26
	s_cvt_f32_u32 s11, s27
	s_sub_nc_u64 s[30:31], 0, s[26:27]
	s_fmamk_f32 s7, s11, 0x4f800000, s7
	s_delay_alu instid0(SALU_CYCLE_3) | instskip(NEXT) | instid1(TRANS32_DEP_1)
	v_s_rcp_f32 s7, s7
	s_mul_f32 s7, s7, 0x5f7ffffc
	s_delay_alu instid0(SALU_CYCLE_3) | instskip(NEXT) | instid1(SALU_CYCLE_3)
	s_mul_f32 s11, s7, 0x2f800000
	s_trunc_f32 s11, s11
	s_delay_alu instid0(SALU_CYCLE_3) | instskip(SKIP_1) | instid1(SALU_CYCLE_2)
	s_fmamk_f32 s7, s11, 0xcf800000, s7
	s_cvt_u32_f32 s29, s11
	s_cvt_u32_f32 s28, s7
	s_delay_alu instid0(SALU_CYCLE_3) | instskip(NEXT) | instid1(SALU_CYCLE_1)
	s_mul_u64 s[34:35], s[30:31], s[28:29]
	s_mul_hi_u32 s37, s28, s35
	s_mul_i32 s36, s28, s35
	s_mul_hi_u32 s24, s28, s34
	s_mul_i32 s11, s29, s34
	s_add_nc_u64 s[36:37], s[24:25], s[36:37]
	s_mul_hi_u32 s7, s29, s34
	s_mul_hi_u32 s33, s29, s35
	s_add_co_u32 s11, s36, s11
	s_add_co_ci_u32 s24, s37, s7
	s_mul_i32 s34, s29, s35
	s_add_co_ci_u32 s35, s33, 0
	s_delay_alu instid0(SALU_CYCLE_1) | instskip(NEXT) | instid1(SALU_CYCLE_1)
	s_add_nc_u64 s[34:35], s[24:25], s[34:35]
	s_add_co_u32 s28, s28, s34
	s_cselect_b32 s7, -1, 0
	s_delay_alu instid0(SALU_CYCLE_1) | instskip(SKIP_1) | instid1(SALU_CYCLE_1)
	s_cmp_lg_u32 s7, 0
	s_add_co_ci_u32 s29, s29, s35
	s_mul_u64 s[30:31], s[30:31], s[28:29]
	s_delay_alu instid0(SALU_CYCLE_1)
	s_mul_hi_u32 s35, s28, s31
	s_mul_i32 s34, s28, s31
	s_mul_hi_u32 s24, s28, s30
	s_mul_i32 s11, s29, s30
	s_add_nc_u64 s[34:35], s[24:25], s[34:35]
	s_mul_hi_u32 s7, s29, s30
	s_mul_hi_u32 s33, s29, s31
	s_add_co_u32 s11, s34, s11
	s_add_co_ci_u32 s24, s35, s7
	s_mul_i32 s30, s29, s31
	s_add_co_ci_u32 s31, s33, 0
	s_delay_alu instid0(SALU_CYCLE_1) | instskip(NEXT) | instid1(SALU_CYCLE_1)
	s_add_nc_u64 s[30:31], s[24:25], s[30:31]
	s_add_co_u32 s7, s28, s30
	s_cselect_b32 s11, -1, 0
	s_delay_alu instid0(SALU_CYCLE_1) | instskip(SKIP_2) | instid1(SALU_CYCLE_1)
	s_cmp_lg_u32 s11, 0
	s_add_co_ci_u32 s11, s29, s31
	s_ashr_i32 s28, s13, 31
	s_mov_b32 s29, s28
	s_delay_alu instid0(SALU_CYCLE_1) | instskip(NEXT) | instid1(SALU_CYCLE_1)
	s_add_nc_u64 s[30:31], s[12:13], s[28:29]
	s_xor_b64 s[30:31], s[30:31], s[28:29]
	s_delay_alu instid0(SALU_CYCLE_1)
	s_mul_hi_u32 s35, s30, s11
	s_mul_i32 s34, s30, s11
	s_mul_hi_u32 s24, s30, s7
	s_mul_hi_u32 s33, s31, s7
	s_mul_i32 s7, s31, s7
	s_add_nc_u64 s[34:35], s[24:25], s[34:35]
	s_mul_hi_u32 s13, s31, s11
	s_add_co_u32 s7, s34, s7
	s_add_co_ci_u32 s24, s35, s33
	s_mul_i32 s36, s31, s11
	s_add_co_ci_u32 s37, s13, 0
	s_delay_alu instid0(SALU_CYCLE_1) | instskip(NEXT) | instid1(SALU_CYCLE_1)
	s_add_nc_u64 s[34:35], s[24:25], s[36:37]
	s_and_b64 s[36:37], s[34:35], 0xffffffff00000000
	s_delay_alu instid0(SALU_CYCLE_1) | instskip(NEXT) | instid1(SALU_CYCLE_1)
	s_or_b32 s36, s36, s34
	s_mul_u64 s[34:35], s[26:27], s[36:37]
	s_add_nc_u64 s[38:39], s[36:37], 1
	s_sub_co_u32 s7, s30, s34
	s_cselect_b32 s11, -1, 0
	s_sub_co_i32 s13, s31, s35
	s_cmp_lg_u32 s11, 0
	s_add_nc_u64 s[40:41], s[36:37], 2
	s_sub_co_ci_u32 s13, s13, s27
	s_sub_co_u32 s24, s7, s26
	s_cselect_b32 s30, -1, 0
	s_delay_alu instid0(SALU_CYCLE_1) | instskip(SKIP_1) | instid1(SALU_CYCLE_1)
	s_cmp_lg_u32 s30, 0
	s_sub_co_ci_u32 s13, s13, 0
	s_cmp_ge_u32 s13, s27
	s_cselect_b32 s30, -1, 0
	s_cmp_ge_u32 s24, s26
	s_cselect_b32 s24, -1, 0
	s_cmp_eq_u32 s13, s27
	s_cselect_b32 s13, s24, s30
	s_delay_alu instid0(SALU_CYCLE_1) | instskip(SKIP_4) | instid1(SALU_CYCLE_1)
	s_cmp_lg_u32 s13, 0
	s_cselect_b32 s13, s40, s38
	s_cselect_b32 s24, s41, s39
	s_cmp_lg_u32 s11, 0
	s_sub_co_ci_u32 s11, s31, s35
	s_cmp_ge_u32 s11, s27
	s_cselect_b32 s30, -1, 0
	s_cmp_ge_u32 s7, s26
	s_cselect_b32 s7, -1, 0
	s_cmp_eq_u32 s11, s27
	s_cselect_b32 s7, s7, s30
	s_delay_alu instid0(SALU_CYCLE_1) | instskip(SKIP_3) | instid1(SALU_CYCLE_1)
	s_cmp_lg_u32 s7, 0
	s_cselect_b32 s27, s24, s37
	s_cselect_b32 s26, s13, s36
	s_xor_b64 s[22:23], s[28:29], s[22:23]
	s_xor_b64 s[26:27], s[26:27], s[22:23]
	s_delay_alu instid0(SALU_CYCLE_1)
	s_sub_nc_u64 s[22:23], s[26:27], s[22:23]
	s_load_b32 s7, s[0:1], 0x64
	s_cbranch_execnz .LBB2_9
.LBB2_8:
	v_cvt_f32_u32_e32 v1, s10
	s_sub_co_i32 s13, 0, s10
	s_delay_alu instid0(VALU_DEP_1) | instskip(SKIP_1) | instid1(TRANS32_DEP_1)
	v_rcp_iflag_f32_e32 v1, v1
	v_nop
	v_mul_f32_e32 v1, 0x4f7ffffe, v1
	s_delay_alu instid0(VALU_DEP_1) | instskip(NEXT) | instid1(VALU_DEP_1)
	v_cvt_u32_f32_e32 v1, v1
	v_readfirstlane_b32 s11, v1
	s_mul_i32 s13, s13, s11
	s_delay_alu instid0(SALU_CYCLE_1) | instskip(NEXT) | instid1(SALU_CYCLE_1)
	s_mul_hi_u32 s13, s11, s13
	s_add_co_i32 s11, s11, s13
	s_delay_alu instid0(SALU_CYCLE_1) | instskip(NEXT) | instid1(SALU_CYCLE_1)
	s_mul_hi_u32 s11, s12, s11
	s_mul_i32 s13, s11, s10
	s_delay_alu instid0(SALU_CYCLE_1)
	s_sub_co_i32 s12, s12, s13
	s_add_co_i32 s13, s11, 1
	s_sub_co_i32 s22, s12, s10
	s_cmp_ge_u32 s12, s10
	s_cselect_b32 s11, s13, s11
	s_cselect_b32 s12, s22, s12
	s_add_co_i32 s13, s11, 1
	s_cmp_ge_u32 s12, s10
	s_cselect_b32 s22, s13, s11
.LBB2_9:
	s_bfe_u32 s10, ttmp6, 0x40010
	s_bfe_u32 s12, ttmp6, 0x40004
	s_add_co_i32 s10, s10, 1
	s_wait_kmcnt 0x0
	s_lshr_b32 s11, s7, 16
	s_mul_i32 s10, ttmp7, s10
	v_bfe_u32 v1, v0, 10, 10
	s_add_co_i32 s12, s12, s10
	s_cmp_eq_u32 s19, 0
	s_cselect_b32 s10, ttmp7, s12
	s_mov_b32 s12, exec_lo
	v_mad_u32 v2, s10, s11, v1
	s_mov_b32 s10, 0
	s_delay_alu instid0(VALU_DEP_1)
	v_cmpx_gt_i32_e64 s8, v2
	s_cbranch_execz .LBB2_51
; %bb.10:
	s_mov_b32 s19, s10
	s_ashr_i32 s13, s8, 31
	s_mul_u64 s[14:15], s[18:19], s[14:15]
	s_mov_b32 s12, s8
	s_add_nc_u64 s[24:25], s[20:21], s[14:15]
	s_ashr_i32 s15, s9, 31
	s_mov_b32 s14, s9
	s_sub_co_i32 s33, s22, s24
	s_mul_u64 s[22:23], s[14:15], s[12:13]
	s_add_co_i32 s33, s33, 1
	s_mul_u64 s[2:3], s[22:23], s[2:3]
	s_bfe_i64 s[26:27], s[16:17], 0x200000
	s_bfe_i64 s[28:29], s[24:25], 0x200000
	s_lshl_b64 s[22:23], s[2:3], 1
	s_lshl_b64 s[2:3], s[2:3], 3
	s_and_b32 s40, s7, 0xffff
	s_ashr_i32 s17, s5, 31
	s_ashr_i32 s7, s6, 31
	s_cmp_gt_i32 s33, 0
	v_cvt_f32_u32_e32 v3, s12
	s_cselect_b32 s41, -1, 0
	s_ashr_i32 s42, s8, 31
	v_and_b32_e32 v22, 0x3ff, v0
	s_add_co_i32 s16, s8, s42
	v_rcp_iflag_f32_e32 v3, v3
	s_xor_b32 s43, s16, s42
	s_clause 0x2
	s_load_b32 s46, s[0:1], 0x5c
	s_load_b128 s[36:39], s[0:1], 0x0
	s_load_b64 s[30:31], s[0:1], 0x10
	v_cvt_f32_u32_e32 v1, s43
	s_load_b256 s[48:55], s[0:1], 0x30
	s_wait_xcnt 0x0
	s_sub_co_i32 s0, 0, s43
	s_sub_co_i32 s1, 0, s8
	v_mul_f32_e32 v3, 0x4f7ffffe, v3
	v_rcp_iflag_f32_e32 v1, v1
	s_mul_i32 s45, s4, s18
	s_mov_b32 s16, s5
	s_add_co_i32 s45, s45, s20
	v_cvt_u32_f32_e32 v3, v3
	s_mov_b64 s[18:19], 0xffffffff
	s_mul_i32 s44, s5, s24
	v_mul_f32_e32 v1, 0x4f7ffffe, v1
	s_mul_i32 s47, s6, s5
	v_mul_lo_u32 v5, s1, v3
	s_ashr_i32 s34, s13, 31
	s_delay_alu instid0(VALU_DEP_2)
	v_cvt_u32_f32_e32 v0, v1
	s_wait_kmcnt 0x0
	s_add_nc_u64 s[20:21], s[38:39], s[22:23]
	s_add_nc_u64 s[22:23], s[30:31], s[2:3]
	s_mul_i32 s46, s46, s11
	s_mul_u64 s[2:3], s[50:51], s[28:29]
	v_mul_lo_u32 v4, s0, v0
	s_mul_u64 s[26:27], s[48:49], s[26:27]
	s_lshl_b64 s[2:3], s[2:3], 1
	v_mul_hi_u32 v5, v3, v5
	s_lshl_b64 s[28:29], s[26:27], 1
	v_cmp_gt_i32_e64 s0, s9, v22
	s_add_nc_u64 s[2:3], s[2:3], s[28:29]
	s_lshl_b64 s[24:25], s[52:53], 1
	s_lshl_b64 s[26:27], s[54:55], 1
	;; [unrolled: 1-line block ×3, first 2 shown]
	s_add_nc_u64 s[30:31], s[36:37], s[2:3]
	v_mul_hi_u32 v4, v0, v4
	v_mov_b32_e32 v1, 0
	s_mov_b32 s48, 0
	s_delay_alu instid0(VALU_DEP_2)
	v_dual_add_nc_u32 v24, v3, v5 :: v_dual_add_nc_u32 v23, v0, v4
	s_branch .LBB2_12
.LBB2_11:                               ;   in Loop: Header=BB2_12 Depth=1
	s_or_b32 exec_lo, exec_lo, s35
	v_add_nc_u32_e32 v2, s46, v2
	s_delay_alu instid0(VALU_DEP_1) | instskip(SKIP_1) | instid1(SALU_CYCLE_1)
	v_cmp_le_i32_e32 vcc_lo, s8, v2
	s_or_b32 s48, vcc_lo, s48
	s_and_not1_b32 exec_lo, exec_lo, s48
	s_cbranch_execz .LBB2_51
.LBB2_12:                               ; =>This Loop Header: Depth=1
                                        ;     Child Loop BB2_28 Depth 2
                                        ;       Child Loop BB2_44 Depth 3
                                        ;         Child Loop BB2_47 Depth 4
                                        ;           Child Loop BB2_49 Depth 5
	s_delay_alu instid0(VALU_DEP_2) | instskip(SKIP_1) | instid1(VALU_DEP_1)
	v_dual_mov_b32 v4, v1 :: v_dual_ashrrev_i32 v3, 31, v2
	s_mov_b32 s1, exec_lo
                                        ; implicit-def: $vgpr6_vgpr7
	v_or_b32_e32 v5, s13, v3
	s_delay_alu instid0(VALU_DEP_1)
	v_cmpx_ne_u64_e32 0, v[4:5]
	s_xor_b32 s1, exec_lo, s1
	s_cbranch_execz .LBB2_14
; %bb.13:                               ;   in Loop: Header=BB2_12 Depth=1
	v_ashrrev_i32_e32 v0, 31, v2
	s_delay_alu instid0(VALU_DEP_1) | instskip(NEXT) | instid1(VALU_DEP_1)
	v_add_nc_u32_e32 v4, v2, v0
	v_xor_b32_e32 v4, v4, v0
	s_delay_alu instid0(VALU_DEP_1) | instskip(NEXT) | instid1(VALU_DEP_1)
	v_mul_hi_u32 v5, v4, v23
	v_mul_lo_u32 v6, v5, s43
	s_delay_alu instid0(VALU_DEP_1) | instskip(SKIP_1) | instid1(VALU_DEP_2)
	v_dual_sub_nc_u32 v4, v4, v6 :: v_dual_add_nc_u32 v6, 1, v5
	v_xor_b32_e32 v0, s42, v0
	v_subrev_nc_u32_e32 v7, s43, v4
	v_cmp_le_u32_e32 vcc_lo, s43, v4
	s_delay_alu instid0(VALU_DEP_2) | instskip(NEXT) | instid1(VALU_DEP_1)
	v_dual_cndmask_b32 v4, v4, v7 :: v_dual_cndmask_b32 v5, v5, v6
	v_cmp_le_u32_e32 vcc_lo, s43, v4
	s_delay_alu instid0(VALU_DEP_2) | instskip(NEXT) | instid1(VALU_DEP_1)
	v_add_nc_u32_e32 v6, 1, v5
	v_cndmask_b32_e32 v4, v5, v6, vcc_lo
	s_delay_alu instid0(VALU_DEP_1) | instskip(NEXT) | instid1(VALU_DEP_1)
	v_xor_b32_e32 v4, v4, v0
	v_sub_nc_u32_e32 v6, v4, v0
	s_delay_alu instid0(VALU_DEP_1)
	v_ashrrev_i32_e32 v7, 31, v6
.LBB2_14:                               ;   in Loop: Header=BB2_12 Depth=1
	s_and_not1_saveexec_b32 s1, s1
	s_cbranch_execz .LBB2_16
; %bb.15:                               ;   in Loop: Header=BB2_12 Depth=1
	v_mul_hi_u32 v0, v2, v24
	s_delay_alu instid0(VALU_DEP_1) | instskip(SKIP_1) | instid1(VALU_DEP_2)
	v_mul_lo_u32 v4, v0, s12
	v_add_nc_u32_e32 v5, 1, v0
	v_sub_nc_u32_e32 v4, v2, v4
	s_delay_alu instid0(VALU_DEP_1) | instskip(NEXT) | instid1(VALU_DEP_3)
	v_cmp_le_u32_e32 vcc_lo, s12, v4
	v_cndmask_b32_e32 v0, v0, v5, vcc_lo
	v_subrev_nc_u32_e32 v6, s12, v4
	s_delay_alu instid0(VALU_DEP_1) | instskip(NEXT) | instid1(VALU_DEP_1)
	v_dual_cndmask_b32 v4, v4, v6 :: v_dual_add_nc_u32 v5, 1, v0
	v_cmp_le_u32_e32 vcc_lo, s12, v4
	s_delay_alu instid0(VALU_DEP_2) | instskip(NEXT) | instid1(VALU_DEP_1)
	v_cndmask_b32_e32 v0, v0, v5, vcc_lo
	v_mov_b64_e32 v[6:7], v[0:1]
.LBB2_16:                               ;   in Loop: Header=BB2_12 Depth=1
	s_or_b32 exec_lo, exec_lo, s1
	s_delay_alu instid0(VALU_DEP_1) | instskip(SKIP_1) | instid1(VALU_DEP_2)
	v_mul_u64_e32 v[4:5], s[12:13], v[6:7]
	v_mov_b32_e32 v8, v1
	v_sub_nc_u64_e32 v[4:5], v[2:3], v[4:5]
	s_delay_alu instid0(VALU_DEP_1) | instskip(NEXT) | instid1(VALU_DEP_1)
	v_mul_u64_e32 v[4:5], s[16:17], v[4:5]
	v_or_b32_e32 v9, s13, v5
	s_delay_alu instid0(VALU_DEP_1) | instskip(SKIP_1) | instid1(SALU_CYCLE_1)
	v_cmp_ne_u64_e32 vcc_lo, 0, v[8:9]
                                        ; implicit-def: $vgpr8_vgpr9
	s_and_saveexec_b32 s1, vcc_lo
	s_xor_b32 s4, exec_lo, s1
	s_cbranch_execz .LBB2_18
; %bb.17:                               ;   in Loop: Header=BB2_12 Depth=1
	s_mov_b32 s35, s34
	s_mov_b32 s51, s10
	s_add_nc_u64 s[2:3], s[12:13], s[34:35]
	s_mov_b32 s55, s10
	s_xor_b64 s[2:3], s[2:3], s[34:35]
	v_dual_mov_b32 v13, v1 :: v_dual_ashrrev_i32 v8, 31, v5
	s_cvt_f32_u32 s1, s2
	s_cvt_f32_u32 s11, s3
	s_sub_nc_u64 s[38:39], 0, s[2:3]
	s_delay_alu instid0(VALU_DEP_1) | instskip(NEXT) | instid1(SALU_CYCLE_1)
	v_dual_mov_b32 v9, v8 :: v_dual_mov_b32 v17, v1
	s_fmamk_f32 s1, s11, 0x4f800000, s1
	s_delay_alu instid0(VALU_DEP_1) | instskip(NEXT) | instid1(SALU_CYCLE_2)
	v_add_nc_u64_e32 v[4:5], v[4:5], v[8:9]
	v_s_rcp_f32 s1, s1
	s_delay_alu instid0(VALU_DEP_1) | instskip(NEXT) | instid1(VALU_DEP_2)
	v_xor_b32_e32 v0, v4, v8
	v_xor_b32_e32 v12, v5, v8
	s_delay_alu instid0(TRANS32_DEP_1) | instskip(SKIP_1) | instid1(SALU_CYCLE_2)
	s_mul_f32 s1, s1, 0x5f7ffffc
	v_xor_b32_e32 v8, s34, v8
	s_mul_f32 s11, s1, 0x2f800000
	s_delay_alu instid0(SALU_CYCLE_3) | instskip(NEXT) | instid1(SALU_CYCLE_3)
	s_trunc_f32 s11, s11
	s_fmamk_f32 s1, s11, 0xcf800000, s1
	s_cvt_u32_f32 s37, s11
	s_delay_alu instid0(SALU_CYCLE_2) | instskip(NEXT) | instid1(SALU_CYCLE_3)
	s_cvt_u32_f32 s36, s1
	s_mul_u64 s[52:53], s[38:39], s[36:37]
	s_delay_alu instid0(SALU_CYCLE_1)
	s_mul_hi_u32 s57, s36, s53
	s_mul_i32 s56, s36, s53
	s_mul_hi_u32 s50, s36, s52
	s_mul_i32 s11, s37, s52
	s_add_nc_u64 s[50:51], s[50:51], s[56:57]
	s_mul_hi_u32 s1, s37, s52
	s_mul_hi_u32 s35, s37, s53
	s_add_co_u32 s11, s50, s11
	s_add_co_ci_u32 s54, s51, s1
	s_mul_i32 s52, s37, s53
	s_add_co_ci_u32 s53, s35, 0
	s_delay_alu instid0(SALU_CYCLE_1) | instskip(SKIP_3) | instid1(SALU_CYCLE_1)
	s_add_nc_u64 s[50:51], s[54:55], s[52:53]
	s_mov_b32 s53, s10
	s_add_co_u32 s36, s36, s50
	s_cselect_b32 s1, -1, 0
	s_cmp_lg_u32 s1, 0
	s_add_co_ci_u32 s37, s37, s51
	s_mov_b32 s51, s10
	s_mul_u64 s[38:39], s[38:39], s[36:37]
	s_delay_alu instid0(SALU_CYCLE_1)
	s_mul_hi_u32 s55, s36, s39
	s_mul_i32 s54, s36, s39
	s_mul_hi_u32 s52, s36, s38
	s_mul_i32 s11, s37, s38
	s_add_nc_u64 s[52:53], s[52:53], s[54:55]
	s_mul_hi_u32 s1, s37, s38
	s_mul_hi_u32 s35, s37, s39
	s_add_co_u32 s11, s52, s11
	s_add_co_ci_u32 s50, s53, s1
	s_mul_i32 s38, s37, s39
	s_add_co_ci_u32 s39, s35, 0
	s_delay_alu instid0(SALU_CYCLE_1) | instskip(NEXT) | instid1(SALU_CYCLE_1)
	s_add_nc_u64 s[38:39], s[50:51], s[38:39]
	s_add_co_u32 s36, s36, s38
	s_cselect_b32 s1, -1, 0
	v_mul_hi_u32 v16, v0, s36
	s_cmp_lg_u32 s1, 0
	s_add_co_ci_u32 s50, s37, s39
	s_and_b64 s[38:39], s[36:37], s[18:19]
	v_mul_u64_e32 v[10:11], s[50:51], v[0:1]
	v_mul_u64_e32 v[4:5], s[38:39], v[12:13]
	;; [unrolled: 1-line block ×3, first 2 shown]
	s_delay_alu instid0(VALU_DEP_3) | instskip(NEXT) | instid1(VALU_DEP_1)
	v_add_nc_u64_e32 v[10:11], v[16:17], v[10:11]
	v_add_co_u32 v4, vcc_lo, v10, v4
	s_delay_alu instid0(VALU_DEP_2) | instskip(NEXT) | instid1(VALU_DEP_4)
	v_add_co_ci_u32_e32 v16, vcc_lo, v11, v5, vcc_lo
	v_add_co_ci_u32_e32 v15, vcc_lo, 0, v15, vcc_lo
	s_delay_alu instid0(VALU_DEP_1) | instskip(NEXT) | instid1(VALU_DEP_1)
	v_add_nc_u64_e32 v[4:5], v[16:17], v[14:15]
	v_mul_u64_e32 v[10:11], s[2:3], v[4:5]
	s_delay_alu instid0(VALU_DEP_1) | instskip(NEXT) | instid1(VALU_DEP_2)
	v_sub_nc_u32_e32 v7, v12, v11
	v_sub_co_u32 v0, vcc_lo, v0, v10
	s_delay_alu instid0(VALU_DEP_1) | instskip(NEXT) | instid1(VALU_DEP_3)
	v_sub_co_ci_u32_e64 v14, null, v12, v11, vcc_lo
	v_subrev_co_ci_u32_e64 v7, null, s3, v7, vcc_lo
	s_delay_alu instid0(VALU_DEP_3) | instskip(SKIP_1) | instid1(VALU_DEP_3)
	v_sub_co_u32 v9, s1, v0, s2
	v_add_nc_u64_e32 v[12:13], 1, v[4:5]
	v_subrev_co_ci_u32_e64 v7, null, 0, v7, s1
	s_delay_alu instid0(VALU_DEP_3) | instskip(SKIP_1) | instid1(VALU_DEP_3)
	v_cmp_le_u32_e32 vcc_lo, s2, v9
	v_cndmask_b32_e64 v9, 0, -1, vcc_lo
	v_cmp_le_u32_e32 vcc_lo, s3, v7
	v_cndmask_b32_e64 v10, 0, -1, vcc_lo
	;; [unrolled: 2-line block ×4, first 2 shown]
	v_cmp_eq_u32_e32 vcc_lo, s3, v7
	v_cndmask_b32_e32 v7, v10, v9, vcc_lo
	v_cmp_eq_u32_e32 vcc_lo, s3, v14
	v_add_nc_u64_e32 v[10:11], 2, v[4:5]
	v_cndmask_b32_e32 v0, v15, v0, vcc_lo
	s_delay_alu instid0(VALU_DEP_4) | instskip(NEXT) | instid1(VALU_DEP_2)
	v_cmp_ne_u32_e32 vcc_lo, 0, v7
	v_cmp_ne_u32_e64 s1, 0, v0
	s_delay_alu instid0(VALU_DEP_4) | instskip(NEXT) | instid1(VALU_DEP_1)
	v_dual_cndmask_b32 v7, v13, v11 :: v_dual_cndmask_b32 v0, v12, v10
	v_dual_cndmask_b32 v5, v5, v7, s1 :: v_dual_cndmask_b32 v0, v4, v0, s1
	s_delay_alu instid0(VALU_DEP_1) | instskip(NEXT) | instid1(VALU_DEP_2)
	v_dual_mov_b32 v9, v8 :: v_dual_bitop2_b32 v5, v5, v8 bitop3:0x14
	v_xor_b32_e32 v4, v0, v8
	s_delay_alu instid0(VALU_DEP_1)
	v_sub_nc_u64_e32 v[8:9], v[4:5], v[8:9]
                                        ; implicit-def: $vgpr4_vgpr5
.LBB2_18:                               ;   in Loop: Header=BB2_12 Depth=1
	s_and_not1_saveexec_b32 s1, s4
	s_cbranch_execz .LBB2_20
; %bb.19:                               ;   in Loop: Header=BB2_12 Depth=1
	s_delay_alu instid0(VALU_DEP_3) | instskip(NEXT) | instid1(VALU_DEP_1)
	v_mul_hi_u32 v0, v4, v24
	v_mul_lo_u32 v5, v0, s12
	s_delay_alu instid0(VALU_DEP_1) | instskip(NEXT) | instid1(VALU_DEP_1)
	v_dual_sub_nc_u32 v4, v4, v5 :: v_dual_add_nc_u32 v5, 1, v0
	v_subrev_nc_u32_e32 v7, s12, v4
	v_cmp_le_u32_e32 vcc_lo, s12, v4
	s_delay_alu instid0(VALU_DEP_3) | instskip(NEXT) | instid1(VALU_DEP_1)
	v_cndmask_b32_e32 v0, v0, v5, vcc_lo
	v_dual_cndmask_b32 v4, v4, v7 :: v_dual_add_nc_u32 v5, 1, v0
	s_delay_alu instid0(VALU_DEP_1) | instskip(NEXT) | instid1(VALU_DEP_2)
	v_cmp_le_u32_e32 vcc_lo, s12, v4
	v_cndmask_b32_e32 v0, v0, v5, vcc_lo
	s_delay_alu instid0(VALU_DEP_1)
	v_mov_b64_e32 v[8:9], v[0:1]
.LBB2_20:                               ;   in Loop: Header=BB2_12 Depth=1
	s_or_b32 exec_lo, exec_lo, s1
	v_add_nc_u64_e32 v[10:11], 1, v[2:3]
	s_delay_alu instid0(VALU_DEP_1) | instskip(NEXT) | instid1(VALU_DEP_1)
	v_mad_nc_u64_u32 v[4:5], v10, s16, -1
	v_mad_u32 v0, v11, s16, v5
	s_delay_alu instid0(VALU_DEP_1) | instskip(NEXT) | instid1(VALU_DEP_1)
	v_mad_u32 v5, v10, s17, v0
	v_dual_mov_b32 v10, v1 :: v_dual_bitop2_b32 v11, s13, v5 bitop3:0x54
	s_delay_alu instid0(VALU_DEP_1) | instskip(SKIP_1) | instid1(SALU_CYCLE_1)
	v_cmp_ne_u64_e32 vcc_lo, 0, v[10:11]
                                        ; implicit-def: $vgpr10_vgpr11
	s_and_saveexec_b32 s1, vcc_lo
	s_xor_b32 s4, exec_lo, s1
	s_cbranch_execnz .LBB2_23
; %bb.21:                               ;   in Loop: Header=BB2_12 Depth=1
	s_and_not1_saveexec_b32 s1, s4
	s_cbranch_execnz .LBB2_24
.LBB2_22:                               ;   in Loop: Header=BB2_12 Depth=1
	s_or_b32 exec_lo, exec_lo, s1
	s_and_saveexec_b32 s35, s0
	s_cbranch_execz .LBB2_11
	s_branch .LBB2_25
.LBB2_23:                               ;   in Loop: Header=BB2_12 Depth=1
	s_mov_b32 s35, s34
	s_mov_b32 s51, s10
	s_add_nc_u64 s[2:3], s[12:13], s[34:35]
	s_mov_b32 s55, s10
	s_xor_b64 s[2:3], s[2:3], s[34:35]
	v_dual_mov_b32 v15, v1 :: v_dual_ashrrev_i32 v10, 31, v5
	s_cvt_f32_u32 s1, s2
	s_cvt_f32_u32 s11, s3
	s_sub_nc_u64 s[38:39], 0, s[2:3]
	s_delay_alu instid0(VALU_DEP_1) | instskip(NEXT) | instid1(SALU_CYCLE_1)
	v_mov_b32_e32 v11, v10
	s_fmamk_f32 s1, s11, 0x4f800000, s1
	s_delay_alu instid0(VALU_DEP_1) | instskip(NEXT) | instid1(SALU_CYCLE_2)
	v_add_nc_u64_e32 v[4:5], v[4:5], v[10:11]
	v_s_rcp_f32 s1, s1
	s_delay_alu instid0(VALU_DEP_1) | instskip(NEXT) | instid1(VALU_DEP_2)
	v_xor_b32_e32 v0, v4, v10
	v_xor_b32_e32 v14, v5, v10
	s_delay_alu instid0(TRANS32_DEP_1) | instskip(SKIP_1) | instid1(SALU_CYCLE_2)
	s_mul_f32 s1, s1, 0x5f7ffffc
	v_dual_mov_b32 v19, v1 :: v_dual_bitop2_b32 v10, s34, v10 bitop3:0x14
	s_mul_f32 s11, s1, 0x2f800000
	s_delay_alu instid0(SALU_CYCLE_3) | instskip(NEXT) | instid1(SALU_CYCLE_3)
	s_trunc_f32 s11, s11
	s_fmamk_f32 s1, s11, 0xcf800000, s1
	s_cvt_u32_f32 s37, s11
	s_delay_alu instid0(SALU_CYCLE_2) | instskip(NEXT) | instid1(SALU_CYCLE_3)
	s_cvt_u32_f32 s36, s1
	s_mul_u64 s[52:53], s[38:39], s[36:37]
	s_delay_alu instid0(SALU_CYCLE_1)
	s_mul_hi_u32 s57, s36, s53
	s_mul_i32 s56, s36, s53
	s_mul_hi_u32 s50, s36, s52
	s_mul_i32 s11, s37, s52
	s_add_nc_u64 s[50:51], s[50:51], s[56:57]
	s_mul_hi_u32 s1, s37, s52
	s_mul_hi_u32 s35, s37, s53
	s_add_co_u32 s11, s50, s11
	s_add_co_ci_u32 s54, s51, s1
	s_mul_i32 s52, s37, s53
	s_add_co_ci_u32 s53, s35, 0
	s_delay_alu instid0(SALU_CYCLE_1) | instskip(SKIP_3) | instid1(SALU_CYCLE_1)
	s_add_nc_u64 s[50:51], s[54:55], s[52:53]
	s_mov_b32 s53, s10
	s_add_co_u32 s36, s36, s50
	s_cselect_b32 s1, -1, 0
	s_cmp_lg_u32 s1, 0
	s_add_co_ci_u32 s37, s37, s51
	s_mov_b32 s51, s10
	s_mul_u64 s[38:39], s[38:39], s[36:37]
	s_delay_alu instid0(SALU_CYCLE_1)
	s_mul_hi_u32 s55, s36, s39
	s_mul_i32 s54, s36, s39
	s_mul_hi_u32 s52, s36, s38
	s_mul_i32 s11, s37, s38
	s_add_nc_u64 s[52:53], s[52:53], s[54:55]
	s_mul_hi_u32 s1, s37, s38
	s_mul_hi_u32 s35, s37, s39
	s_add_co_u32 s11, s52, s11
	s_add_co_ci_u32 s50, s53, s1
	s_mul_i32 s38, s37, s39
	s_add_co_ci_u32 s39, s35, 0
	s_delay_alu instid0(SALU_CYCLE_1) | instskip(NEXT) | instid1(SALU_CYCLE_1)
	s_add_nc_u64 s[38:39], s[50:51], s[38:39]
	s_add_co_u32 s36, s36, s38
	s_cselect_b32 s1, -1, 0
	v_mul_hi_u32 v18, v0, s36
	s_cmp_lg_u32 s1, 0
	s_add_co_ci_u32 s50, s37, s39
	s_and_b64 s[38:39], s[36:37], s[18:19]
	v_mul_u64_e32 v[12:13], s[50:51], v[0:1]
	v_mul_u64_e32 v[4:5], s[38:39], v[14:15]
	;; [unrolled: 1-line block ×3, first 2 shown]
	s_delay_alu instid0(VALU_DEP_3) | instskip(NEXT) | instid1(VALU_DEP_1)
	v_add_nc_u64_e32 v[12:13], v[18:19], v[12:13]
	v_add_co_u32 v3, vcc_lo, v12, v4
	s_delay_alu instid0(VALU_DEP_2) | instskip(NEXT) | instid1(VALU_DEP_4)
	v_add_co_ci_u32_e32 v18, vcc_lo, v13, v5, vcc_lo
	v_add_co_ci_u32_e32 v17, vcc_lo, 0, v17, vcc_lo
	s_delay_alu instid0(VALU_DEP_1) | instskip(NEXT) | instid1(VALU_DEP_1)
	v_add_nc_u64_e32 v[4:5], v[18:19], v[16:17]
	v_mul_u64_e32 v[12:13], s[2:3], v[4:5]
	s_delay_alu instid0(VALU_DEP_1) | instskip(NEXT) | instid1(VALU_DEP_2)
	v_sub_nc_u32_e32 v3, v14, v13
	v_sub_co_u32 v0, vcc_lo, v0, v12
	s_delay_alu instid0(VALU_DEP_1) | instskip(NEXT) | instid1(VALU_DEP_3)
	v_sub_co_ci_u32_e64 v11, null, v14, v13, vcc_lo
	v_subrev_co_ci_u32_e64 v3, null, s3, v3, vcc_lo
	s_delay_alu instid0(VALU_DEP_3) | instskip(SKIP_1) | instid1(VALU_DEP_3)
	v_sub_co_u32 v7, s1, v0, s2
	v_add_nc_u64_e32 v[14:15], 1, v[4:5]
	v_subrev_co_ci_u32_e64 v3, null, 0, v3, s1
	s_delay_alu instid0(VALU_DEP_3) | instskip(SKIP_1) | instid1(VALU_DEP_3)
	v_cmp_le_u32_e32 vcc_lo, s2, v7
	v_cndmask_b32_e64 v7, 0, -1, vcc_lo
	v_cmp_le_u32_e32 vcc_lo, s3, v3
	v_cndmask_b32_e64 v12, 0, -1, vcc_lo
	;; [unrolled: 2-line block ×4, first 2 shown]
	v_cmp_eq_u32_e32 vcc_lo, s3, v3
	v_cndmask_b32_e32 v3, v12, v7, vcc_lo
	v_cmp_eq_u32_e32 vcc_lo, s3, v11
	v_add_nc_u64_e32 v[12:13], 2, v[4:5]
	v_cndmask_b32_e32 v0, v16, v0, vcc_lo
	s_delay_alu instid0(VALU_DEP_4) | instskip(NEXT) | instid1(VALU_DEP_3)
	v_cmp_ne_u32_e32 vcc_lo, 0, v3
	v_cndmask_b32_e32 v3, v15, v13, vcc_lo
	s_delay_alu instid0(VALU_DEP_3) | instskip(NEXT) | instid1(VALU_DEP_1)
	v_cmp_ne_u32_e64 s1, 0, v0
	v_dual_cndmask_b32 v0, v14, v12, vcc_lo :: v_dual_cndmask_b32 v3, v5, v3, s1
	s_delay_alu instid0(VALU_DEP_1) | instskip(NEXT) | instid1(VALU_DEP_2)
	v_dual_cndmask_b32 v0, v4, v0, s1 :: v_dual_mov_b32 v11, v10
	v_xor_b32_e32 v5, v3, v10
	s_delay_alu instid0(VALU_DEP_2) | instskip(NEXT) | instid1(VALU_DEP_1)
	v_xor_b32_e32 v4, v0, v10
	v_sub_nc_u64_e32 v[10:11], v[4:5], v[10:11]
                                        ; implicit-def: $vgpr4_vgpr5
	s_and_not1_saveexec_b32 s1, s4
	s_cbranch_execz .LBB2_22
.LBB2_24:                               ;   in Loop: Header=BB2_12 Depth=1
	v_mul_hi_u32 v0, v4, v24
	s_delay_alu instid0(VALU_DEP_1) | instskip(NEXT) | instid1(VALU_DEP_1)
	v_mul_lo_u32 v3, v0, s12
	v_dual_sub_nc_u32 v3, v4, v3 :: v_dual_add_nc_u32 v4, 1, v0
	s_delay_alu instid0(VALU_DEP_1) | instskip(SKIP_1) | instid1(VALU_DEP_2)
	v_subrev_nc_u32_e32 v5, s12, v3
	v_cmp_le_u32_e32 vcc_lo, s12, v3
	v_dual_cndmask_b32 v3, v3, v5 :: v_dual_cndmask_b32 v0, v0, v4
	s_delay_alu instid0(VALU_DEP_1) | instskip(NEXT) | instid1(VALU_DEP_2)
	v_cmp_le_u32_e32 vcc_lo, s12, v3
	v_add_nc_u32_e32 v4, 1, v0
	s_delay_alu instid0(VALU_DEP_1)
	v_cndmask_b32_e32 v10, v0, v4, vcc_lo
	s_or_b32 exec_lo, exec_lo, s1
	s_and_saveexec_b32 s35, s0
	s_cbranch_execz .LBB2_11
.LBB2_25:                               ;   in Loop: Header=BB2_12 Depth=1
	v_mad_nc_u64_u32 v[12:13], v6, s16, v[8:9]
	v_mul_lo_u32 v14, v2, s9
	s_mov_b32 s49, 0
	v_add_nc_u32_e32 v6, s45, v6
	s_delay_alu instid0(VALU_DEP_1) | instskip(NEXT) | instid1(VALU_DEP_4)
	v_mad_u32 v26, s5, v6, v8
	v_mad_nc_u64_u32 v[4:5], s24, v12, s[30:31]
	v_dual_sub_nc_u32 v3, v10, v12 :: v_dual_ashrrev_i32 v7, 31, v12
	s_delay_alu instid0(VALU_DEP_2) | instskip(SKIP_1) | instid1(VALU_DEP_3)
	v_mad_u32 v0, s25, v12, v5
	v_dual_add_nc_u32 v5, s44, v12 :: v_dual_ashrrev_i32 v15, 31, v14
	v_add_nc_u32_e32 v3, 1, v3
	s_delay_alu instid0(VALU_DEP_2) | instskip(NEXT) | instid1(VALU_DEP_3)
	v_mul_lo_u32 v25, v5, s6
	v_lshl_add_u64 v[8:9], v[14:15], 3, s[22:23]
	s_delay_alu instid0(VALU_DEP_3)
	v_cmp_lt_i32_e64 s1, 0, v3
	v_mad_u32 v5, s24, v7, v0
	v_lshl_add_u64 v[6:7], v[14:15], 1, s[20:21]
	v_mov_b32_e32 v0, v22
	s_branch .LBB2_28
.LBB2_26:                               ;   in Loop: Header=BB2_28 Depth=2
	v_mov_b32_e32 v18, 0xfffffc00
.LBB2_27:                               ;   in Loop: Header=BB2_28 Depth=2
	v_lshl_add_u64 v[10:11], v[0:1], 1, v[6:7]
	v_lshl_add_u64 v[12:13], v[0:1], 3, v[8:9]
	v_add_nc_u32_e32 v0, s40, v0
	global_store_b16 v[10:11], v18, off
	global_store_b64 v[12:13], v[14:15], off
	v_cmp_le_i32_e32 vcc_lo, s9, v0
	s_or_b32 s49, vcc_lo, s49
	s_wait_xcnt 0x0
	s_and_not1_b32 exec_lo, exec_lo, s49
	s_cbranch_execz .LBB2_11
.LBB2_28:                               ;   Parent Loop BB2_12 Depth=1
                                        ; =>  This Loop Header: Depth=2
                                        ;       Child Loop BB2_44 Depth 3
                                        ;         Child Loop BB2_47 Depth 4
                                        ;           Child Loop BB2_49 Depth 5
	s_mov_b32 s11, s15
                                        ; implicit-def: $vgpr10_vgpr11
	s_delay_alu instid0(SALU_CYCLE_1) | instskip(SKIP_1) | instid1(SALU_CYCLE_1)
	s_cmp_lg_u64 s[10:11], 0
	s_cselect_b32 s2, -1, 0
	s_and_saveexec_b32 s3, s2
	s_delay_alu instid0(SALU_CYCLE_1)
	s_xor_b32 s3, exec_lo, s3
	s_cbranch_execz .LBB2_30
; %bb.29:                               ;   in Loop: Header=BB2_28 Depth=2
	s_ashr_i32 s36, s15, 31
	s_mov_b32 s55, s10
	s_mov_b32 s37, s36
	;; [unrolled: 1-line block ×3, first 2 shown]
	s_add_nc_u64 s[38:39], s[14:15], s[36:37]
	v_add_nc_u64_e32 v[10:11], 0, v[0:1]
	s_xor_b64 s[38:39], s[38:39], s[36:37]
	v_mov_b32_e32 v13, v1
	s_cvt_f32_u32 s2, s38
	s_cvt_f32_u32 s4, s39
	s_sub_nc_u64 s[52:53], 0, s[38:39]
	s_delay_alu instid0(VALU_DEP_2) | instskip(NEXT) | instid1(SALU_CYCLE_1)
	v_dual_mov_b32 v15, v1 :: v_dual_mov_b32 v14, v11
	s_fmamk_f32 s2, s4, 0x4f800000, s2
	v_dual_mov_b32 v12, v10 :: v_dual_mov_b32 v19, v1
	s_delay_alu instid0(SALU_CYCLE_2) | instskip(NEXT) | instid1(TRANS32_DEP_1)
	v_s_rcp_f32 s2, s2
	s_mul_f32 s2, s2, 0x5f7ffffc
	s_delay_alu instid0(SALU_CYCLE_3) | instskip(NEXT) | instid1(SALU_CYCLE_3)
	s_mul_f32 s4, s2, 0x2f800000
	s_trunc_f32 s4, s4
	s_delay_alu instid0(SALU_CYCLE_3) | instskip(SKIP_1) | instid1(SALU_CYCLE_2)
	s_fmamk_f32 s2, s4, 0xcf800000, s2
	s_cvt_u32_f32 s51, s4
	s_cvt_u32_f32 s50, s2
	s_delay_alu instid0(SALU_CYCLE_3) | instskip(NEXT) | instid1(SALU_CYCLE_1)
	s_mul_u64 s[56:57], s[52:53], s[50:51]
	s_mul_hi_u32 s61, s50, s57
	s_mul_i32 s60, s50, s57
	s_mul_hi_u32 s54, s50, s56
	s_mul_i32 s4, s51, s56
	s_add_nc_u64 s[54:55], s[54:55], s[60:61]
	s_mul_hi_u32 s2, s51, s56
	s_mul_hi_u32 s11, s51, s57
	s_add_co_u32 s4, s54, s4
	s_add_co_ci_u32 s58, s55, s2
	s_mul_i32 s56, s51, s57
	s_add_co_ci_u32 s57, s11, 0
	s_delay_alu instid0(SALU_CYCLE_1) | instskip(SKIP_3) | instid1(SALU_CYCLE_1)
	s_add_nc_u64 s[54:55], s[58:59], s[56:57]
	s_mov_b32 s57, s10
	s_add_co_u32 s50, s50, s54
	s_cselect_b32 s2, -1, 0
	s_cmp_lg_u32 s2, 0
	s_add_co_ci_u32 s51, s51, s55
	s_mov_b32 s55, s10
	s_mul_u64 s[52:53], s[52:53], s[50:51]
	s_delay_alu instid0(SALU_CYCLE_1)
	s_mul_hi_u32 s59, s50, s53
	s_mul_i32 s58, s50, s53
	s_mul_hi_u32 s56, s50, s52
	s_mul_i32 s4, s51, s52
	s_add_nc_u64 s[56:57], s[56:57], s[58:59]
	s_mul_hi_u32 s2, s51, s52
	s_mul_hi_u32 s11, s51, s53
	s_add_co_u32 s4, s56, s4
	s_add_co_ci_u32 s54, s57, s2
	s_mul_i32 s52, s51, s53
	s_add_co_ci_u32 s53, s11, 0
	s_delay_alu instid0(SALU_CYCLE_1) | instskip(NEXT) | instid1(SALU_CYCLE_1)
	s_add_nc_u64 s[52:53], s[54:55], s[52:53]
	s_add_co_u32 s2, s50, s52
	s_cselect_b32 s4, -1, 0
	v_nop
	v_mul_hi_u32 v18, v10, s2
	s_cmp_lg_u32 s4, 0
	s_add_co_ci_u32 s54, s51, s53
	s_and_b64 s[50:51], s[2:3], s[18:19]
	v_mul_u64_e32 v[12:13], s[54:55], v[12:13]
	v_mul_u64_e32 v[16:17], s[50:51], v[14:15]
	;; [unrolled: 1-line block ×3, first 2 shown]
	s_delay_alu instid0(VALU_DEP_3) | instskip(NEXT) | instid1(VALU_DEP_1)
	v_add_nc_u64_e32 v[12:13], v[18:19], v[12:13]
	v_add_co_u32 v12, vcc_lo, v12, v16
	s_delay_alu instid0(VALU_DEP_2) | instskip(NEXT) | instid1(VALU_DEP_4)
	v_add_co_ci_u32_e32 v18, vcc_lo, v13, v17, vcc_lo
	v_add_co_ci_u32_e32 v15, vcc_lo, 0, v15, vcc_lo
	s_delay_alu instid0(VALU_DEP_1) | instskip(NEXT) | instid1(VALU_DEP_1)
	v_add_nc_u64_e32 v[12:13], v[18:19], v[14:15]
	v_mul_u64_e32 v[14:15], s[38:39], v[12:13]
	s_delay_alu instid0(VALU_DEP_1) | instskip(NEXT) | instid1(VALU_DEP_2)
	v_sub_nc_u32_e32 v16, v11, v15
	v_sub_co_u32 v10, vcc_lo, v10, v14
	s_delay_alu instid0(VALU_DEP_1) | instskip(NEXT) | instid1(VALU_DEP_3)
	v_sub_co_ci_u32_e64 v15, null, v11, v15, vcc_lo
	v_subrev_co_ci_u32_e64 v14, null, s39, v16, vcc_lo
	s_delay_alu instid0(VALU_DEP_3) | instskip(SKIP_1) | instid1(VALU_DEP_3)
	v_sub_co_u32 v18, s2, v10, s38
	v_cmp_le_u32_e32 vcc_lo, s38, v10
	v_subrev_co_ci_u32_e64 v14, null, 0, v14, s2
	s_delay_alu instid0(VALU_DEP_3) | instskip(SKIP_2) | instid1(VALU_DEP_4)
	v_cmp_le_u32_e64 s2, s38, v18
	v_add_nc_u64_e32 v[16:17], 2, v[12:13]
	v_cndmask_b32_e64 v20, 0, -1, vcc_lo
	v_cmp_eq_u32_e32 vcc_lo, s39, v14
	v_add_nc_u64_e32 v[10:11], 1, v[12:13]
	v_cndmask_b32_e64 v18, 0, -1, s2
	v_cmp_le_u32_e64 s2, s39, v14
	s_delay_alu instid0(VALU_DEP_1) | instskip(SKIP_1) | instid1(VALU_DEP_2)
	v_cndmask_b32_e64 v19, 0, -1, s2
	v_cmp_eq_u32_e64 s2, s39, v15
	v_cndmask_b32_e32 v14, v19, v18, vcc_lo
	v_cmp_le_u32_e32 vcc_lo, s39, v15
	v_cndmask_b32_e64 v18, 0, -1, vcc_lo
	s_delay_alu instid0(VALU_DEP_3) | instskip(NEXT) | instid1(VALU_DEP_2)
	v_cmp_ne_u32_e32 vcc_lo, 0, v14
	v_dual_cndmask_b32 v14, v18, v20, s2 :: v_dual_cndmask_b32 v11, v11, v17, vcc_lo
	v_cndmask_b32_e32 v10, v10, v16, vcc_lo
	s_delay_alu instid0(VALU_DEP_2) | instskip(NEXT) | instid1(VALU_DEP_2)
	v_cmp_ne_u32_e32 vcc_lo, 0, v14
	v_dual_cndmask_b32 v13, v13, v11 :: v_dual_cndmask_b32 v12, v12, v10
	v_dual_mov_b32 v11, s36 :: v_dual_mov_b32 v10, s36
	s_delay_alu instid0(VALU_DEP_2) | instskip(NEXT) | instid1(VALU_DEP_3)
	v_xor_b32_e32 v13, s36, v13
	v_xor_b32_e32 v12, s36, v12
	s_delay_alu instid0(VALU_DEP_1)
	v_sub_nc_u64_e32 v[10:11], v[12:13], v[10:11]
.LBB2_30:                               ;   in Loop: Header=BB2_28 Depth=2
	s_and_not1_saveexec_b32 s2, s3
	s_cbranch_execz .LBB2_32
; %bb.31:                               ;   in Loop: Header=BB2_28 Depth=2
	v_cvt_f32_u32_e32 v10, s14
	s_sub_co_i32 s3, 0, s14
	s_delay_alu instid0(VALU_DEP_1) | instskip(SKIP_1) | instid1(TRANS32_DEP_1)
	v_rcp_iflag_f32_e32 v10, v10
	v_nop
	v_mul_f32_e32 v10, 0x4f7ffffe, v10
	s_delay_alu instid0(VALU_DEP_1) | instskip(NEXT) | instid1(VALU_DEP_1)
	v_cvt_u32_f32_e32 v10, v10
	v_mul_lo_u32 v11, s3, v10
	s_delay_alu instid0(VALU_DEP_1) | instskip(NEXT) | instid1(VALU_DEP_1)
	v_mul_hi_u32 v11, v10, v11
	v_add_nc_u32_e32 v10, v10, v11
	s_delay_alu instid0(VALU_DEP_1) | instskip(NEXT) | instid1(VALU_DEP_1)
	v_mul_hi_u32 v10, v0, v10
	v_mul_lo_u32 v11, v10, s14
	s_delay_alu instid0(VALU_DEP_1) | instskip(NEXT) | instid1(VALU_DEP_1)
	v_dual_add_nc_u32 v12, 1, v10 :: v_dual_sub_nc_u32 v11, v0, v11
	v_subrev_nc_u32_e32 v13, s14, v11
	v_cmp_le_u32_e32 vcc_lo, s14, v11
	s_delay_alu instid0(VALU_DEP_2) | instskip(NEXT) | instid1(VALU_DEP_1)
	v_dual_cndmask_b32 v11, v11, v13 :: v_dual_cndmask_b32 v10, v10, v12
	v_cmp_le_u32_e32 vcc_lo, s14, v11
	s_delay_alu instid0(VALU_DEP_2) | instskip(NEXT) | instid1(VALU_DEP_1)
	v_dual_mov_b32 v11, v1 :: v_dual_add_nc_u32 v12, 1, v10
	v_cndmask_b32_e32 v10, v10, v12, vcc_lo
.LBB2_32:                               ;   in Loop: Header=BB2_28 Depth=2
	s_or_b32 exec_lo, exec_lo, s2
	s_delay_alu instid0(VALU_DEP_1) | instskip(NEXT) | instid1(VALU_DEP_1)
	v_mul_u64_e32 v[12:13], s[14:15], v[10:11]
	v_sub_nc_u64_e32 v[12:13], v[0:1], v[12:13]
	s_delay_alu instid0(VALU_DEP_1) | instskip(NEXT) | instid1(VALU_DEP_1)
	v_mul_u64_e32 v[14:15], s[6:7], v[12:13]
	v_dual_mov_b32 v12, v1 :: v_dual_bitop2_b32 v13, s15, v15 bitop3:0x54
	s_delay_alu instid0(VALU_DEP_1) | instskip(SKIP_1) | instid1(SALU_CYCLE_1)
	v_cmp_ne_u64_e32 vcc_lo, 0, v[12:13]
                                        ; implicit-def: $vgpr12_vgpr13
	s_and_saveexec_b32 s2, vcc_lo
	s_xor_b32 s3, exec_lo, s2
	s_cbranch_execz .LBB2_34
; %bb.33:                               ;   in Loop: Header=BB2_28 Depth=2
	s_ashr_i32 s36, s15, 31
	s_mov_b32 s55, s10
	s_mov_b32 s37, s36
	;; [unrolled: 1-line block ×3, first 2 shown]
	s_add_nc_u64 s[38:39], s[14:15], s[36:37]
	v_dual_mov_b32 v17, v1 :: v_dual_ashrrev_i32 v12, 31, v15
	s_xor_b64 s[38:39], s[38:39], s[36:37]
	s_delay_alu instid0(SALU_CYCLE_1) | instskip(SKIP_3) | instid1(SALU_CYCLE_1)
	s_cvt_f32_u32 s2, s38
	s_cvt_f32_u32 s4, s39
	s_sub_nc_u64 s[52:53], 0, s[38:39]
	v_mov_b32_e32 v13, v12
	s_fmamk_f32 s2, s4, 0x4f800000, s2
	s_delay_alu instid0(VALU_DEP_1) | instskip(NEXT) | instid1(SALU_CYCLE_2)
	v_add_nc_u64_e32 v[14:15], v[14:15], v[12:13]
	v_s_rcp_f32 s2, s2
	s_delay_alu instid0(VALU_DEP_1) | instskip(NEXT) | instid1(VALU_DEP_2)
	v_dual_mov_b32 v21, v1 :: v_dual_bitop2_b32 v20, v15, v12 bitop3:0x14
	v_xor_b32_e32 v16, v14, v12
	s_delay_alu instid0(TRANS32_DEP_1) | instskip(SKIP_1) | instid1(SALU_CYCLE_2)
	s_mul_f32 s2, s2, 0x5f7ffffc
	v_dual_mov_b32 v31, v1 :: v_dual_bitop2_b32 v12, s36, v12 bitop3:0x14
	s_mul_f32 s4, s2, 0x2f800000
	s_delay_alu instid0(SALU_CYCLE_3) | instskip(NEXT) | instid1(SALU_CYCLE_3)
	s_trunc_f32 s4, s4
	s_fmamk_f32 s2, s4, 0xcf800000, s2
	s_cvt_u32_f32 s51, s4
	s_delay_alu instid0(SALU_CYCLE_2) | instskip(NEXT) | instid1(SALU_CYCLE_3)
	s_cvt_u32_f32 s50, s2
	s_mul_u64 s[56:57], s[52:53], s[50:51]
	s_delay_alu instid0(SALU_CYCLE_1)
	s_mul_hi_u32 s61, s50, s57
	s_mul_i32 s60, s50, s57
	s_mul_hi_u32 s54, s50, s56
	s_mul_i32 s4, s51, s56
	s_add_nc_u64 s[54:55], s[54:55], s[60:61]
	s_mul_hi_u32 s2, s51, s56
	s_mul_hi_u32 s11, s51, s57
	s_add_co_u32 s4, s54, s4
	s_add_co_ci_u32 s58, s55, s2
	s_mul_i32 s56, s51, s57
	s_add_co_ci_u32 s57, s11, 0
	s_delay_alu instid0(SALU_CYCLE_1) | instskip(SKIP_3) | instid1(SALU_CYCLE_1)
	s_add_nc_u64 s[54:55], s[58:59], s[56:57]
	s_mov_b32 s57, s10
	s_add_co_u32 s50, s50, s54
	s_cselect_b32 s2, -1, 0
	s_cmp_lg_u32 s2, 0
	s_add_co_ci_u32 s51, s51, s55
	s_mov_b32 s55, s10
	s_mul_u64 s[52:53], s[52:53], s[50:51]
	s_delay_alu instid0(SALU_CYCLE_1)
	s_mul_hi_u32 s59, s50, s53
	s_mul_i32 s58, s50, s53
	s_mul_hi_u32 s56, s50, s52
	s_mul_i32 s4, s51, s52
	s_add_nc_u64 s[56:57], s[56:57], s[58:59]
	s_mul_hi_u32 s2, s51, s52
	s_mul_hi_u32 s11, s51, s53
	s_add_co_u32 s4, s56, s4
	s_add_co_ci_u32 s54, s57, s2
	s_mul_i32 s52, s51, s53
	s_add_co_ci_u32 s53, s11, 0
	s_delay_alu instid0(SALU_CYCLE_1) | instskip(NEXT) | instid1(SALU_CYCLE_1)
	s_add_nc_u64 s[52:53], s[54:55], s[52:53]
	s_add_co_u32 s2, s50, s52
	s_cselect_b32 s4, -1, 0
	v_mul_hi_u32 v30, v16, s2
	s_cmp_lg_u32 s4, 0
	s_add_co_ci_u32 s54, s51, s53
	s_and_b64 s[50:51], s[2:3], s[18:19]
	v_mul_u64_e32 v[18:19], s[54:55], v[16:17]
	v_mul_u64_e32 v[14:15], s[50:51], v[20:21]
	;; [unrolled: 1-line block ×3, first 2 shown]
	s_delay_alu instid0(VALU_DEP_3) | instskip(NEXT) | instid1(VALU_DEP_1)
	v_add_nc_u64_e32 v[18:19], v[30:31], v[18:19]
	v_add_co_u32 v11, vcc_lo, v18, v14
	s_delay_alu instid0(VALU_DEP_2) | instskip(NEXT) | instid1(VALU_DEP_4)
	v_add_co_ci_u32_e32 v30, vcc_lo, v19, v15, vcc_lo
	v_add_co_ci_u32_e32 v29, vcc_lo, 0, v29, vcc_lo
	s_delay_alu instid0(VALU_DEP_1) | instskip(NEXT) | instid1(VALU_DEP_1)
	v_add_nc_u64_e32 v[14:15], v[30:31], v[28:29]
	v_mul_u64_e32 v[18:19], s[38:39], v[14:15]
	s_delay_alu instid0(VALU_DEP_1) | instskip(NEXT) | instid1(VALU_DEP_2)
	v_sub_nc_u32_e32 v11, v20, v19
	v_sub_co_u32 v13, vcc_lo, v16, v18
	s_delay_alu instid0(VALU_DEP_1) | instskip(NEXT) | instid1(VALU_DEP_3)
	v_sub_co_ci_u32_e64 v20, null, v20, v19, vcc_lo
	v_subrev_co_ci_u32_e64 v11, null, s39, v11, vcc_lo
	s_delay_alu instid0(VALU_DEP_3) | instskip(SKIP_1) | instid1(VALU_DEP_3)
	v_sub_co_u32 v16, s2, v13, s38
	v_add_nc_u64_e32 v[18:19], 1, v[14:15]
	v_subrev_co_ci_u32_e64 v11, null, 0, v11, s2
	s_delay_alu instid0(VALU_DEP_3) | instskip(SKIP_1) | instid1(VALU_DEP_3)
	v_cmp_le_u32_e32 vcc_lo, s38, v16
	v_cndmask_b32_e64 v16, 0, -1, vcc_lo
	v_cmp_le_u32_e32 vcc_lo, s39, v11
	v_cndmask_b32_e64 v17, 0, -1, vcc_lo
	;; [unrolled: 2-line block ×4, first 2 shown]
	v_cmp_eq_u32_e32 vcc_lo, s39, v11
	v_cndmask_b32_e32 v11, v17, v16, vcc_lo
	v_cmp_eq_u32_e32 vcc_lo, s39, v20
	v_add_nc_u64_e32 v[16:17], 2, v[14:15]
	v_cndmask_b32_e32 v13, v21, v13, vcc_lo
	s_delay_alu instid0(VALU_DEP_4) | instskip(NEXT) | instid1(VALU_DEP_2)
	v_cmp_ne_u32_e32 vcc_lo, 0, v11
	v_cmp_ne_u32_e64 s2, 0, v13
	s_delay_alu instid0(VALU_DEP_4) | instskip(NEXT) | instid1(VALU_DEP_1)
	v_dual_cndmask_b32 v11, v19, v17, vcc_lo :: v_dual_cndmask_b32 v13, v18, v16, vcc_lo
	v_dual_cndmask_b32 v14, v14, v13, s2 :: v_dual_mov_b32 v13, v12
	s_delay_alu instid0(VALU_DEP_1) | instskip(NEXT) | instid1(VALU_DEP_1)
	v_dual_cndmask_b32 v11, v15, v11, s2 :: v_dual_bitop2_b32 v14, v14, v12 bitop3:0x14
	v_xor_b32_e32 v15, v11, v12
	s_delay_alu instid0(VALU_DEP_1)
	v_sub_nc_u64_e32 v[12:13], v[14:15], v[12:13]
                                        ; implicit-def: $vgpr14_vgpr15
.LBB2_34:                               ;   in Loop: Header=BB2_28 Depth=2
	s_and_not1_saveexec_b32 s2, s3
	s_cbranch_execz .LBB2_36
; %bb.35:                               ;   in Loop: Header=BB2_28 Depth=2
	v_cvt_f32_u32_e32 v11, s14
	s_sub_co_i32 s3, 0, s14
	s_delay_alu instid0(VALU_DEP_1) | instskip(SKIP_1) | instid1(TRANS32_DEP_1)
	v_rcp_iflag_f32_e32 v11, v11
	v_nop
	v_mul_f32_e32 v11, 0x4f7ffffe, v11
	s_delay_alu instid0(VALU_DEP_1) | instskip(NEXT) | instid1(VALU_DEP_1)
	v_cvt_u32_f32_e32 v11, v11
	v_mul_lo_u32 v12, s3, v11
	s_delay_alu instid0(VALU_DEP_1) | instskip(NEXT) | instid1(VALU_DEP_1)
	v_mul_hi_u32 v12, v11, v12
	v_add_nc_u32_e32 v11, v11, v12
	s_delay_alu instid0(VALU_DEP_1) | instskip(NEXT) | instid1(VALU_DEP_1)
	v_mul_hi_u32 v11, v14, v11
	v_mul_lo_u32 v12, v11, s14
	s_delay_alu instid0(VALU_DEP_1) | instskip(NEXT) | instid1(VALU_DEP_1)
	v_dual_add_nc_u32 v13, 1, v11 :: v_dual_sub_nc_u32 v12, v14, v12
	v_subrev_nc_u32_e32 v14, s14, v12
	v_cmp_le_u32_e32 vcc_lo, s14, v12
	s_delay_alu instid0(VALU_DEP_2) | instskip(NEXT) | instid1(VALU_DEP_1)
	v_dual_cndmask_b32 v12, v12, v14 :: v_dual_cndmask_b32 v11, v11, v13
	v_cmp_le_u32_e32 vcc_lo, s14, v12
	s_delay_alu instid0(VALU_DEP_2) | instskip(NEXT) | instid1(VALU_DEP_1)
	v_add_nc_u32_e32 v13, 1, v11
	v_dual_cndmask_b32 v12, v11, v13 :: v_dual_mov_b32 v13, v1
.LBB2_36:                               ;   in Loop: Header=BB2_28 Depth=2
	s_or_b32 exec_lo, exec_lo, s2
	v_dual_mov_b32 v16, v1 :: v_dual_add_nc_u32 v11, 1, v0
                                        ; implicit-def: $vgpr18_vgpr19
	s_mov_b32 s2, exec_lo
	s_delay_alu instid0(VALU_DEP_1) | instskip(NEXT) | instid1(VALU_DEP_1)
	v_mad_nc_u64_u32 v[14:15], v11, s6, -1
	v_mad_u32 v15, v11, s7, v15
	s_delay_alu instid0(VALU_DEP_1) | instskip(NEXT) | instid1(VALU_DEP_1)
	v_or_b32_e32 v17, s15, v15
	v_cmpx_ne_u64_e32 0, v[16:17]
	s_xor_b32 s3, exec_lo, s2
	s_cbranch_execz .LBB2_38
; %bb.37:                               ;   in Loop: Header=BB2_28 Depth=2
	s_ashr_i32 s36, s15, 31
	s_mov_b32 s55, s10
	s_mov_b32 s37, s36
	;; [unrolled: 1-line block ×3, first 2 shown]
	s_add_nc_u64 s[38:39], s[14:15], s[36:37]
	v_dual_mov_b32 v19, v1 :: v_dual_ashrrev_i32 v16, 31, v15
	s_xor_b64 s[38:39], s[38:39], s[36:37]
	s_delay_alu instid0(SALU_CYCLE_1) | instskip(SKIP_3) | instid1(SALU_CYCLE_1)
	s_cvt_f32_u32 s2, s38
	s_cvt_f32_u32 s4, s39
	s_sub_nc_u64 s[52:53], 0, s[38:39]
	v_mov_b32_e32 v17, v16
	s_fmamk_f32 s2, s4, 0x4f800000, s2
	s_delay_alu instid0(VALU_DEP_1) | instskip(NEXT) | instid1(SALU_CYCLE_2)
	v_add_nc_u64_e32 v[14:15], v[14:15], v[16:17]
	v_s_rcp_f32 s2, s2
	s_delay_alu instid0(VALU_DEP_1) | instskip(NEXT) | instid1(VALU_DEP_2)
	v_dual_mov_b32 v29, v1 :: v_dual_bitop2_b32 v28, v15, v16 bitop3:0x14
	v_xor_b32_e32 v18, v14, v16
	s_delay_alu instid0(TRANS32_DEP_1) | instskip(SKIP_1) | instid1(SALU_CYCLE_2)
	s_mul_f32 s2, s2, 0x5f7ffffc
	v_mov_b32_e32 v33, v1
	s_mul_f32 s4, s2, 0x2f800000
	s_delay_alu instid0(SALU_CYCLE_3) | instskip(NEXT) | instid1(SALU_CYCLE_3)
	s_trunc_f32 s4, s4
	s_fmamk_f32 s2, s4, 0xcf800000, s2
	s_cvt_u32_f32 s51, s4
	s_delay_alu instid0(SALU_CYCLE_2) | instskip(NEXT) | instid1(SALU_CYCLE_3)
	s_cvt_u32_f32 s50, s2
	s_mul_u64 s[56:57], s[52:53], s[50:51]
	s_delay_alu instid0(SALU_CYCLE_1)
	s_mul_hi_u32 s61, s50, s57
	s_mul_i32 s60, s50, s57
	s_mul_hi_u32 s54, s50, s56
	s_mul_i32 s4, s51, s56
	s_add_nc_u64 s[54:55], s[54:55], s[60:61]
	s_mul_hi_u32 s2, s51, s56
	s_mul_hi_u32 s11, s51, s57
	s_add_co_u32 s4, s54, s4
	s_add_co_ci_u32 s58, s55, s2
	s_mul_i32 s56, s51, s57
	s_add_co_ci_u32 s57, s11, 0
	s_delay_alu instid0(SALU_CYCLE_1) | instskip(SKIP_3) | instid1(SALU_CYCLE_1)
	s_add_nc_u64 s[54:55], s[58:59], s[56:57]
	s_mov_b32 s57, s10
	s_add_co_u32 s50, s50, s54
	s_cselect_b32 s2, -1, 0
	s_cmp_lg_u32 s2, 0
	s_add_co_ci_u32 s51, s51, s55
	s_mov_b32 s55, s10
	s_mul_u64 s[52:53], s[52:53], s[50:51]
	s_delay_alu instid0(SALU_CYCLE_1)
	s_mul_hi_u32 s59, s50, s53
	s_mul_i32 s58, s50, s53
	s_mul_hi_u32 s56, s50, s52
	s_mul_i32 s4, s51, s52
	s_add_nc_u64 s[56:57], s[56:57], s[58:59]
	s_mul_hi_u32 s2, s51, s52
	s_mul_hi_u32 s11, s51, s53
	s_add_co_u32 s4, s56, s4
	s_add_co_ci_u32 s54, s57, s2
	s_mul_i32 s52, s51, s53
	s_add_co_ci_u32 s53, s11, 0
	s_delay_alu instid0(SALU_CYCLE_1) | instskip(NEXT) | instid1(SALU_CYCLE_1)
	s_add_nc_u64 s[52:53], s[54:55], s[52:53]
	s_add_co_u32 s2, s50, s52
	s_cselect_b32 s4, -1, 0
	v_mul_hi_u32 v32, v18, s2
	s_cmp_lg_u32 s4, 0
	s_add_co_ci_u32 s54, s51, s53
	s_and_b64 s[50:51], s[2:3], s[18:19]
	v_mul_u64_e32 v[20:21], s[54:55], v[18:19]
	v_mul_u64_e32 v[14:15], s[50:51], v[28:29]
	;; [unrolled: 1-line block ×3, first 2 shown]
	s_delay_alu instid0(VALU_DEP_3) | instskip(NEXT) | instid1(VALU_DEP_1)
	v_add_nc_u64_e32 v[20:21], v[32:33], v[20:21]
	v_add_co_u32 v11, vcc_lo, v20, v14
	s_delay_alu instid0(VALU_DEP_2) | instskip(NEXT) | instid1(VALU_DEP_4)
	v_add_co_ci_u32_e32 v32, vcc_lo, v21, v15, vcc_lo
	v_add_co_ci_u32_e32 v31, vcc_lo, 0, v31, vcc_lo
	s_delay_alu instid0(VALU_DEP_1) | instskip(NEXT) | instid1(VALU_DEP_1)
	v_add_nc_u64_e32 v[14:15], v[32:33], v[30:31]
	v_mul_u64_e32 v[20:21], s[38:39], v[14:15]
	s_delay_alu instid0(VALU_DEP_1) | instskip(NEXT) | instid1(VALU_DEP_2)
	v_sub_nc_u32_e32 v11, v28, v21
	v_sub_co_u32 v17, vcc_lo, v18, v20
	s_delay_alu instid0(VALU_DEP_1) | instskip(NEXT) | instid1(VALU_DEP_3)
	v_sub_co_ci_u32_e64 v27, null, v28, v21, vcc_lo
	v_subrev_co_ci_u32_e64 v11, null, s39, v11, vcc_lo
	s_delay_alu instid0(VALU_DEP_3) | instskip(SKIP_1) | instid1(VALU_DEP_3)
	v_sub_co_u32 v18, s2, v17, s38
	v_add_nc_u64_e32 v[20:21], 1, v[14:15]
	v_subrev_co_ci_u32_e64 v11, null, 0, v11, s2
	s_delay_alu instid0(VALU_DEP_3) | instskip(SKIP_1) | instid1(VALU_DEP_3)
	v_cmp_le_u32_e32 vcc_lo, s38, v18
	v_cndmask_b32_e64 v18, 0, -1, vcc_lo
	v_cmp_le_u32_e32 vcc_lo, s39, v11
	v_cndmask_b32_e64 v19, 0, -1, vcc_lo
	;; [unrolled: 2-line block ×4, first 2 shown]
	v_cmp_eq_u32_e32 vcc_lo, s39, v11
	v_cndmask_b32_e32 v11, v19, v18, vcc_lo
	v_cmp_eq_u32_e32 vcc_lo, s39, v27
	v_add_nc_u64_e32 v[18:19], 2, v[14:15]
	v_cndmask_b32_e32 v17, v28, v17, vcc_lo
	s_delay_alu instid0(VALU_DEP_4) | instskip(NEXT) | instid1(VALU_DEP_2)
	v_cmp_ne_u32_e32 vcc_lo, 0, v11
	v_cmp_ne_u32_e64 s2, 0, v17
	s_delay_alu instid0(VALU_DEP_4) | instskip(NEXT) | instid1(VALU_DEP_1)
	v_dual_cndmask_b32 v11, v21, v19, vcc_lo :: v_dual_cndmask_b32 v17, v20, v18, vcc_lo
	v_dual_cndmask_b32 v11, v15, v11, s2 :: v_dual_bitop2_b32 v16, s36, v16 bitop3:0x14
	s_delay_alu instid0(VALU_DEP_1) | instskip(NEXT) | instid1(VALU_DEP_2)
	v_dual_cndmask_b32 v14, v14, v17, s2 :: v_dual_mov_b32 v17, v16
	v_xor_b32_e32 v15, v11, v16
	s_delay_alu instid0(VALU_DEP_2) | instskip(NEXT) | instid1(VALU_DEP_1)
	v_xor_b32_e32 v14, v14, v16
	v_sub_nc_u64_e32 v[18:19], v[14:15], v[16:17]
                                        ; implicit-def: $vgpr14_vgpr15
.LBB2_38:                               ;   in Loop: Header=BB2_28 Depth=2
	s_and_not1_saveexec_b32 s2, s3
	s_cbranch_execz .LBB2_40
; %bb.39:                               ;   in Loop: Header=BB2_28 Depth=2
	v_cvt_f32_u32_e32 v11, s14
	s_sub_co_i32 s3, 0, s14
	s_delay_alu instid0(VALU_DEP_1) | instskip(SKIP_1) | instid1(TRANS32_DEP_1)
	v_rcp_iflag_f32_e32 v11, v11
	v_nop
	v_mul_f32_e32 v11, 0x4f7ffffe, v11
	s_delay_alu instid0(VALU_DEP_1) | instskip(NEXT) | instid1(VALU_DEP_1)
	v_cvt_u32_f32_e32 v11, v11
	v_mul_lo_u32 v15, s3, v11
	s_delay_alu instid0(VALU_DEP_1) | instskip(NEXT) | instid1(VALU_DEP_1)
	v_mul_hi_u32 v15, v11, v15
	v_add_nc_u32_e32 v11, v11, v15
	s_delay_alu instid0(VALU_DEP_1) | instskip(NEXT) | instid1(VALU_DEP_1)
	v_mul_hi_u32 v11, v14, v11
	v_mul_lo_u32 v15, v11, s14
	s_delay_alu instid0(VALU_DEP_1) | instskip(SKIP_1) | instid1(VALU_DEP_2)
	v_sub_nc_u32_e32 v14, v14, v15
	v_add_nc_u32_e32 v15, 1, v11
	v_subrev_nc_u32_e32 v16, s14, v14
	v_cmp_le_u32_e32 vcc_lo, s14, v14
	s_delay_alu instid0(VALU_DEP_2) | instskip(NEXT) | instid1(VALU_DEP_1)
	v_dual_cndmask_b32 v14, v14, v16 :: v_dual_cndmask_b32 v11, v11, v15
	v_cmp_le_u32_e32 vcc_lo, s14, v14
	s_delay_alu instid0(VALU_DEP_2) | instskip(NEXT) | instid1(VALU_DEP_1)
	v_add_nc_u32_e32 v15, 1, v11
	v_cndmask_b32_e32 v18, v11, v15, vcc_lo
.LBB2_40:                               ;   in Loop: Header=BB2_28 Depth=2
	s_or_b32 exec_lo, exec_lo, s2
	v_mad_nc_u64_u32 v[20:21], v10, s6, v[12:13]
	s_and_not1_b32 vcc_lo, exec_lo, s41
	s_delay_alu instid0(VALU_DEP_1) | instskip(NEXT) | instid1(VALU_DEP_1)
	v_add_nc_u32_e32 v14, v25, v20
	v_ashrrev_i32_e32 v15, 31, v14
	s_cbranch_vccnz .LBB2_26
; %bb.41:                               ;   in Loop: Header=BB2_28 Depth=2
	v_mad_nc_u64_u32 v[16:17], s26, v20, v[4:5]
	v_dual_mov_b32 v18, 0xfffffc00 :: v_dual_sub_nc_u32 v13, v18, v20
	s_mov_b32 s11, 0
	s_delay_alu instid0(VALU_DEP_2) | instskip(SKIP_1) | instid1(VALU_DEP_3)
	v_mad_u32 v11, s27, v20, v17
	v_dual_ashrrev_i32 v17, 31, v20 :: v_dual_add_nc_u32 v10, v26, v10
	v_add_nc_u32_e32 v19, 1, v13
	s_delay_alu instid0(VALU_DEP_2) | instskip(NEXT) | instid1(VALU_DEP_2)
	v_mad_u32 v20, s6, v10, v12
	v_cmp_lt_i32_e32 vcc_lo, 0, v19
	s_delay_alu instid0(VALU_DEP_4)
	v_mad_u32 v17, s26, v17, v11
	s_branch .LBB2_44
.LBB2_42:                               ;   in Loop: Header=BB2_44 Depth=3
	s_or_b32 exec_lo, exec_lo, s37
.LBB2_43:                               ;   in Loop: Header=BB2_44 Depth=3
	s_delay_alu instid0(SALU_CYCLE_1) | instskip(NEXT) | instid1(VALU_DEP_1)
	s_or_b32 exec_lo, exec_lo, s36
	v_add_nc_u64_e32 v[16:17], s[28:29], v[16:17]
	s_delay_alu instid0(VALU_DEP_2) | instskip(SKIP_1) | instid1(SALU_CYCLE_1)
	v_add_nc_u32_e32 v20, s47, v20
	s_add_co_i32 s11, s11, 1
	s_cmp_lt_i32 s11, s33
	s_cbranch_scc0 .LBB2_27
.LBB2_44:                               ;   Parent Loop BB2_12 Depth=1
                                        ;     Parent Loop BB2_28 Depth=2
                                        ; =>    This Loop Header: Depth=3
                                        ;         Child Loop BB2_47 Depth 4
                                        ;           Child Loop BB2_49 Depth 5
	s_and_saveexec_b32 s36, s1
	s_cbranch_execz .LBB2_43
; %bb.45:                               ;   in Loop: Header=BB2_44 Depth=3
	s_delay_alu instid0(VALU_DEP_1) | instskip(NEXT) | instid1(VALU_DEP_2)
	v_mov_b64_e32 v[10:11], v[16:17]
	v_mov_b32_e32 v21, v20
	s_mov_b32 s37, 0
	s_mov_b32 s38, 0
	s_branch .LBB2_47
.LBB2_46:                               ;   in Loop: Header=BB2_47 Depth=4
	s_or_b32 exec_lo, exec_lo, s39
	s_add_co_i32 s38, s38, 1
	v_add_nc_u64_e32 v[10:11], s[24:25], v[10:11]
	v_cmp_ge_i32_e64 s2, s38, v3
	v_add_nc_u32_e32 v21, s6, v21
	s_or_b32 s37, s2, s37
	s_delay_alu instid0(SALU_CYCLE_1)
	s_and_not1_b32 exec_lo, exec_lo, s37
	s_cbranch_execz .LBB2_42
.LBB2_47:                               ;   Parent Loop BB2_12 Depth=1
                                        ;     Parent Loop BB2_28 Depth=2
                                        ;       Parent Loop BB2_44 Depth=3
                                        ; =>      This Loop Header: Depth=4
                                        ;           Child Loop BB2_49 Depth 5
	s_and_saveexec_b32 s39, vcc_lo
	s_cbranch_execz .LBB2_46
; %bb.48:                               ;   in Loop: Header=BB2_47 Depth=4
	v_mov_b64_e32 v[12:13], v[10:11]
	s_mov_b32 s50, 0
	s_mov_b32 s51, 0
.LBB2_49:                               ;   Parent Loop BB2_12 Depth=1
                                        ;     Parent Loop BB2_28 Depth=2
                                        ;       Parent Loop BB2_44 Depth=3
                                        ;         Parent Loop BB2_47 Depth=4
                                        ; =>        This Inner Loop Header: Depth=5
	global_load_u16 v27, v[12:13], off
	s_wait_xcnt 0x0
	v_add_nc_u64_e32 v[12:13], s[26:27], v[12:13]
	s_wait_loadcnt 0x0
	v_cmp_gt_f16_e64 s2, v27, v18
	v_cmp_u_f16_e64 s3, v27, v27
	s_or_b32 s2, s2, s3
	s_delay_alu instid0(SALU_CYCLE_1) | instskip(SKIP_1) | instid1(SALU_CYCLE_1)
	v_dual_add_nc_u32 v28, s51, v21 :: v_dual_cndmask_b32 v18, v18, v27, s2
	s_add_co_i32 s51, s51, 1
	v_cmp_ge_i32_e64 s4, s51, v19
	s_delay_alu instid0(VALU_DEP_2) | instskip(SKIP_1) | instid1(VALU_DEP_1)
	v_dual_ashrrev_i32 v29, 31, v28 :: v_dual_cndmask_b32 v14, v14, v28, s2
	s_or_b32 s50, s4, s50
	v_cndmask_b32_e64 v15, v15, v29, s2
	s_and_not1_b32 exec_lo, exec_lo, s50
	s_cbranch_execnz .LBB2_49
; %bb.50:                               ;   in Loop: Header=BB2_47 Depth=4
	s_or_b32 exec_lo, exec_lo, s50
	s_branch .LBB2_46
.LBB2_51:
	s_endpgm
.LBB2_52:
                                        ; implicit-def: $sgpr16_sgpr17
	s_branch .LBB2_2
.LBB2_53:
                                        ; implicit-def: $sgpr20_sgpr21
	s_branch .LBB2_5
.LBB2_54:
                                        ; implicit-def: $sgpr22_sgpr23
	s_load_b32 s7, s[0:1], 0x64
	s_branch .LBB2_8
	.section	.rodata,"a",@progbits
	.p2align	6, 0x0
	.amdhsa_kernel _ZN2at6native12_GLOBAL__N_115adaptivemaxpoolIN3c104HalfEEEvPKT_PS5_Pliiiiiilllll
		.amdhsa_group_segment_fixed_size 0
		.amdhsa_private_segment_fixed_size 0
		.amdhsa_kernarg_size 344
		.amdhsa_user_sgpr_count 2
		.amdhsa_user_sgpr_dispatch_ptr 0
		.amdhsa_user_sgpr_queue_ptr 0
		.amdhsa_user_sgpr_kernarg_segment_ptr 1
		.amdhsa_user_sgpr_dispatch_id 0
		.amdhsa_user_sgpr_kernarg_preload_length 0
		.amdhsa_user_sgpr_kernarg_preload_offset 0
		.amdhsa_user_sgpr_private_segment_size 0
		.amdhsa_wavefront_size32 1
		.amdhsa_uses_dynamic_stack 0
		.amdhsa_enable_private_segment 0
		.amdhsa_system_sgpr_workgroup_id_x 1
		.amdhsa_system_sgpr_workgroup_id_y 1
		.amdhsa_system_sgpr_workgroup_id_z 0
		.amdhsa_system_sgpr_workgroup_info 0
		.amdhsa_system_vgpr_workitem_id 1
		.amdhsa_next_free_vgpr 34
		.amdhsa_next_free_sgpr 62
		.amdhsa_named_barrier_count 0
		.amdhsa_reserve_vcc 1
		.amdhsa_float_round_mode_32 0
		.amdhsa_float_round_mode_16_64 0
		.amdhsa_float_denorm_mode_32 3
		.amdhsa_float_denorm_mode_16_64 3
		.amdhsa_fp16_overflow 0
		.amdhsa_memory_ordered 1
		.amdhsa_forward_progress 1
		.amdhsa_inst_pref_size 58
		.amdhsa_round_robin_scheduling 0
		.amdhsa_exception_fp_ieee_invalid_op 0
		.amdhsa_exception_fp_denorm_src 0
		.amdhsa_exception_fp_ieee_div_zero 0
		.amdhsa_exception_fp_ieee_overflow 0
		.amdhsa_exception_fp_ieee_underflow 0
		.amdhsa_exception_fp_ieee_inexact 0
		.amdhsa_exception_int_div_zero 0
	.end_amdhsa_kernel
	.section	.text._ZN2at6native12_GLOBAL__N_115adaptivemaxpoolIN3c104HalfEEEvPKT_PS5_Pliiiiiilllll,"axG",@progbits,_ZN2at6native12_GLOBAL__N_115adaptivemaxpoolIN3c104HalfEEEvPKT_PS5_Pliiiiiilllll,comdat
.Lfunc_end2:
	.size	_ZN2at6native12_GLOBAL__N_115adaptivemaxpoolIN3c104HalfEEEvPKT_PS5_Pliiiiiilllll, .Lfunc_end2-_ZN2at6native12_GLOBAL__N_115adaptivemaxpoolIN3c104HalfEEEvPKT_PS5_Pliiiiiilllll
                                        ; -- End function
	.set _ZN2at6native12_GLOBAL__N_115adaptivemaxpoolIN3c104HalfEEEvPKT_PS5_Pliiiiiilllll.num_vgpr, 34
	.set _ZN2at6native12_GLOBAL__N_115adaptivemaxpoolIN3c104HalfEEEvPKT_PS5_Pliiiiiilllll.num_agpr, 0
	.set _ZN2at6native12_GLOBAL__N_115adaptivemaxpoolIN3c104HalfEEEvPKT_PS5_Pliiiiiilllll.numbered_sgpr, 62
	.set _ZN2at6native12_GLOBAL__N_115adaptivemaxpoolIN3c104HalfEEEvPKT_PS5_Pliiiiiilllll.num_named_barrier, 0
	.set _ZN2at6native12_GLOBAL__N_115adaptivemaxpoolIN3c104HalfEEEvPKT_PS5_Pliiiiiilllll.private_seg_size, 0
	.set _ZN2at6native12_GLOBAL__N_115adaptivemaxpoolIN3c104HalfEEEvPKT_PS5_Pliiiiiilllll.uses_vcc, 1
	.set _ZN2at6native12_GLOBAL__N_115adaptivemaxpoolIN3c104HalfEEEvPKT_PS5_Pliiiiiilllll.uses_flat_scratch, 0
	.set _ZN2at6native12_GLOBAL__N_115adaptivemaxpoolIN3c104HalfEEEvPKT_PS5_Pliiiiiilllll.has_dyn_sized_stack, 0
	.set _ZN2at6native12_GLOBAL__N_115adaptivemaxpoolIN3c104HalfEEEvPKT_PS5_Pliiiiiilllll.has_recursion, 0
	.set _ZN2at6native12_GLOBAL__N_115adaptivemaxpoolIN3c104HalfEEEvPKT_PS5_Pliiiiiilllll.has_indirect_call, 0
	.section	.AMDGPU.csdata,"",@progbits
; Kernel info:
; codeLenInByte = 7332
; TotalNumSgprs: 64
; NumVgprs: 34
; ScratchSize: 0
; MemoryBound: 0
; FloatMode: 240
; IeeeMode: 1
; LDSByteSize: 0 bytes/workgroup (compile time only)
; SGPRBlocks: 0
; VGPRBlocks: 2
; NumSGPRsForWavesPerEU: 64
; NumVGPRsForWavesPerEU: 34
; NamedBarCnt: 0
; Occupancy: 16
; WaveLimiterHint : 0
; COMPUTE_PGM_RSRC2:SCRATCH_EN: 0
; COMPUTE_PGM_RSRC2:USER_SGPR: 2
; COMPUTE_PGM_RSRC2:TRAP_HANDLER: 0
; COMPUTE_PGM_RSRC2:TGID_X_EN: 1
; COMPUTE_PGM_RSRC2:TGID_Y_EN: 1
; COMPUTE_PGM_RSRC2:TGID_Z_EN: 0
; COMPUTE_PGM_RSRC2:TIDIG_COMP_CNT: 1
	.section	.text._ZN2at6native12_GLOBAL__N_115adaptivemaxpoolIN3c108BFloat16EEEvPKT_PS5_Pliiiiiilllll,"axG",@progbits,_ZN2at6native12_GLOBAL__N_115adaptivemaxpoolIN3c108BFloat16EEEvPKT_PS5_Pliiiiiilllll,comdat
	.globl	_ZN2at6native12_GLOBAL__N_115adaptivemaxpoolIN3c108BFloat16EEEvPKT_PS5_Pliiiiiilllll ; -- Begin function _ZN2at6native12_GLOBAL__N_115adaptivemaxpoolIN3c108BFloat16EEEvPKT_PS5_Pliiiiiilllll
	.p2align	8
	.type	_ZN2at6native12_GLOBAL__N_115adaptivemaxpoolIN3c108BFloat16EEEvPKT_PS5_Pliiiiiilllll,@function
_ZN2at6native12_GLOBAL__N_115adaptivemaxpoolIN3c108BFloat16EEEvPKT_PS5_Pliiiiiilllll: ; @_ZN2at6native12_GLOBAL__N_115adaptivemaxpoolIN3c108BFloat16EEEvPKT_PS5_Pliiiiiilllll
; %bb.0:
	s_clause 0x2
	s_load_b64 s[2:3], s[0:1], 0x50
	s_load_b128 s[4:7], s[0:1], 0x18
	s_load_b64 s[8:9], s[0:1], 0x28
	s_bfe_u32 s10, ttmp6, 0x4000c
	s_and_b32 s11, ttmp6, 15
	s_add_co_i32 s10, s10, 1
	s_getreg_b32 s19, hwreg(HW_REG_IB_STS2, 6, 4)
	s_mul_i32 s10, ttmp9, s10
	s_mov_b32 s13, 0
	s_add_co_i32 s11, s11, s10
	s_cmp_eq_u32 s19, 0
	s_cselect_b32 s12, ttmp9, s11
	s_wait_kmcnt 0x0
	s_add_nc_u64 s[2:3], s[2:3], s[12:13]
	s_ashr_i32 s11, s7, 31
	s_mov_b32 s10, s7
	s_delay_alu instid0(SALU_CYCLE_1) | instskip(NEXT) | instid1(SALU_CYCLE_1)
	s_or_b64 s[14:15], s[2:3], s[10:11]
	s_and_b64 s[14:15], s[14:15], 0xffffffff00000000
	s_delay_alu instid0(SALU_CYCLE_1)
	s_cmp_lg_u64 s[14:15], 0
	s_cbranch_scc0 .LBB3_52
; %bb.1:
	s_ashr_i32 s14, s11, 31
	s_delay_alu instid0(SALU_CYCLE_1) | instskip(NEXT) | instid1(SALU_CYCLE_1)
	s_mov_b32 s15, s14
	s_add_nc_u64 s[16:17], s[10:11], s[14:15]
	s_delay_alu instid0(SALU_CYCLE_1) | instskip(NEXT) | instid1(SALU_CYCLE_1)
	s_xor_b64 s[16:17], s[16:17], s[14:15]
	s_cvt_f32_u32 s7, s16
	s_cvt_f32_u32 s12, s17
	s_sub_nc_u64 s[22:23], 0, s[16:17]
	s_delay_alu instid0(SALU_CYCLE_2) | instskip(NEXT) | instid1(SALU_CYCLE_3)
	s_fmamk_f32 s7, s12, 0x4f800000, s7
	v_s_rcp_f32 s7, s7
	s_delay_alu instid0(TRANS32_DEP_1) | instskip(NEXT) | instid1(SALU_CYCLE_3)
	s_mul_f32 s7, s7, 0x5f7ffffc
	s_mul_f32 s12, s7, 0x2f800000
	s_delay_alu instid0(SALU_CYCLE_3) | instskip(NEXT) | instid1(SALU_CYCLE_3)
	s_trunc_f32 s12, s12
	s_fmamk_f32 s7, s12, 0xcf800000, s7
	s_cvt_u32_f32 s21, s12
	s_delay_alu instid0(SALU_CYCLE_2) | instskip(NEXT) | instid1(SALU_CYCLE_3)
	s_cvt_u32_f32 s20, s7
	s_mul_u64 s[24:25], s[22:23], s[20:21]
	s_delay_alu instid0(SALU_CYCLE_1)
	s_mul_hi_u32 s27, s20, s25
	s_mul_i32 s26, s20, s25
	s_mul_hi_u32 s12, s20, s24
	s_mul_i32 s18, s21, s24
	s_add_nc_u64 s[26:27], s[12:13], s[26:27]
	s_mul_hi_u32 s7, s21, s24
	s_mul_hi_u32 s28, s21, s25
	s_add_co_u32 s12, s26, s18
	s_add_co_ci_u32 s12, s27, s7
	s_mul_i32 s24, s21, s25
	s_add_co_ci_u32 s25, s28, 0
	s_delay_alu instid0(SALU_CYCLE_1) | instskip(NEXT) | instid1(SALU_CYCLE_1)
	s_add_nc_u64 s[24:25], s[12:13], s[24:25]
	s_add_co_u32 s20, s20, s24
	s_cselect_b32 s7, -1, 0
	s_delay_alu instid0(SALU_CYCLE_1) | instskip(SKIP_1) | instid1(SALU_CYCLE_1)
	s_cmp_lg_u32 s7, 0
	s_add_co_ci_u32 s21, s21, s25
	s_mul_u64 s[22:23], s[22:23], s[20:21]
	s_delay_alu instid0(SALU_CYCLE_1)
	s_mul_hi_u32 s25, s20, s23
	s_mul_i32 s24, s20, s23
	s_mul_hi_u32 s12, s20, s22
	s_mul_i32 s18, s21, s22
	s_add_nc_u64 s[24:25], s[12:13], s[24:25]
	s_mul_hi_u32 s7, s21, s22
	s_mul_hi_u32 s26, s21, s23
	s_add_co_u32 s12, s24, s18
	s_add_co_ci_u32 s12, s25, s7
	s_mul_i32 s22, s21, s23
	s_add_co_ci_u32 s23, s26, 0
	s_delay_alu instid0(SALU_CYCLE_1) | instskip(NEXT) | instid1(SALU_CYCLE_1)
	s_add_nc_u64 s[22:23], s[12:13], s[22:23]
	s_add_co_u32 s7, s20, s22
	s_cselect_b32 s12, -1, 0
	s_delay_alu instid0(SALU_CYCLE_1) | instskip(SKIP_2) | instid1(SALU_CYCLE_1)
	s_cmp_lg_u32 s12, 0
	s_add_co_ci_u32 s18, s21, s23
	s_ashr_i32 s20, s3, 31
	s_mov_b32 s21, s20
	s_delay_alu instid0(SALU_CYCLE_1) | instskip(NEXT) | instid1(SALU_CYCLE_1)
	s_add_nc_u64 s[22:23], s[2:3], s[20:21]
	s_xor_b64 s[22:23], s[22:23], s[20:21]
	s_delay_alu instid0(SALU_CYCLE_1)
	s_mul_hi_u32 s25, s22, s18
	s_mul_i32 s24, s22, s18
	s_mul_hi_u32 s12, s22, s7
	s_mul_hi_u32 s28, s23, s7
	s_mul_i32 s7, s23, s7
	s_add_nc_u64 s[24:25], s[12:13], s[24:25]
	s_mul_hi_u32 s27, s23, s18
	s_add_co_u32 s7, s24, s7
	s_add_co_ci_u32 s12, s25, s28
	s_mul_i32 s26, s23, s18
	s_add_co_ci_u32 s27, s27, 0
	s_delay_alu instid0(SALU_CYCLE_1) | instskip(NEXT) | instid1(SALU_CYCLE_1)
	s_add_nc_u64 s[24:25], s[12:13], s[26:27]
	s_and_b64 s[26:27], s[24:25], 0xffffffff00000000
	s_delay_alu instid0(SALU_CYCLE_1) | instskip(NEXT) | instid1(SALU_CYCLE_1)
	s_or_b32 s26, s26, s24
	s_mul_u64 s[24:25], s[16:17], s[26:27]
	s_add_nc_u64 s[28:29], s[26:27], 1
	s_sub_co_u32 s7, s22, s24
	s_cselect_b32 s12, -1, 0
	s_sub_co_i32 s18, s23, s25
	s_cmp_lg_u32 s12, 0
	s_add_nc_u64 s[30:31], s[26:27], 2
	s_sub_co_ci_u32 s18, s18, s17
	s_sub_co_u32 s22, s7, s16
	s_cselect_b32 s24, -1, 0
	s_delay_alu instid0(SALU_CYCLE_1) | instskip(SKIP_1) | instid1(SALU_CYCLE_1)
	s_cmp_lg_u32 s24, 0
	s_sub_co_ci_u32 s18, s18, 0
	s_cmp_ge_u32 s18, s17
	s_cselect_b32 s24, -1, 0
	s_cmp_ge_u32 s22, s16
	s_cselect_b32 s22, -1, 0
	s_cmp_eq_u32 s18, s17
	s_cselect_b32 s18, s22, s24
	s_delay_alu instid0(SALU_CYCLE_1) | instskip(SKIP_4) | instid1(SALU_CYCLE_1)
	s_cmp_lg_u32 s18, 0
	s_cselect_b32 s18, s30, s28
	s_cselect_b32 s22, s31, s29
	s_cmp_lg_u32 s12, 0
	s_sub_co_ci_u32 s12, s23, s25
	s_cmp_ge_u32 s12, s17
	s_cselect_b32 s23, -1, 0
	s_cmp_ge_u32 s7, s16
	s_cselect_b32 s7, -1, 0
	s_cmp_eq_u32 s12, s17
	s_cselect_b32 s7, s7, s23
	s_delay_alu instid0(SALU_CYCLE_1) | instskip(SKIP_3) | instid1(SALU_CYCLE_1)
	s_cmp_lg_u32 s7, 0
	s_cselect_b32 s17, s22, s27
	s_cselect_b32 s16, s18, s26
	s_xor_b64 s[14:15], s[20:21], s[14:15]
	s_xor_b64 s[16:17], s[16:17], s[14:15]
	s_delay_alu instid0(SALU_CYCLE_1)
	s_sub_nc_u64 s[16:17], s[16:17], s[14:15]
	s_and_not1_b32 vcc_lo, exec_lo, s13
	s_cbranch_vccnz .LBB3_3
.LBB3_2:
	v_cvt_f32_u32_e32 v1, s10
	s_sub_co_i32 s12, 0, s10
	s_mov_b32 s17, 0
	s_delay_alu instid0(VALU_DEP_1) | instskip(SKIP_1) | instid1(TRANS32_DEP_1)
	v_rcp_iflag_f32_e32 v1, v1
	v_nop
	v_mul_f32_e32 v1, 0x4f7ffffe, v1
	s_delay_alu instid0(VALU_DEP_1) | instskip(NEXT) | instid1(VALU_DEP_1)
	v_cvt_u32_f32_e32 v1, v1
	v_readfirstlane_b32 s7, v1
	s_mul_i32 s12, s12, s7
	s_delay_alu instid0(SALU_CYCLE_1) | instskip(NEXT) | instid1(SALU_CYCLE_1)
	s_mul_hi_u32 s12, s7, s12
	s_add_co_i32 s7, s7, s12
	s_delay_alu instid0(SALU_CYCLE_1) | instskip(NEXT) | instid1(SALU_CYCLE_1)
	s_mul_hi_u32 s7, s2, s7
	s_mul_i32 s12, s7, s10
	s_add_co_i32 s13, s7, 1
	s_sub_co_i32 s12, s2, s12
	s_delay_alu instid0(SALU_CYCLE_1)
	s_sub_co_i32 s14, s12, s10
	s_cmp_ge_u32 s12, s10
	s_cselect_b32 s7, s13, s7
	s_cselect_b32 s12, s14, s12
	s_add_co_i32 s13, s7, 1
	s_cmp_ge_u32 s12, s10
	s_cselect_b32 s16, s13, s7
.LBB3_3:
	s_abs_i32 s7, s10
	s_mov_b32 s25, 0
	s_cvt_f32_u32 s12, s7
	s_sub_co_i32 s15, 0, s7
	s_delay_alu instid0(SALU_CYCLE_2) | instskip(SKIP_1) | instid1(TRANS32_DEP_1)
	v_rcp_iflag_f32_e32 v1, s12
	v_nop
	v_readfirstlane_b32 s12, v1
	s_mul_f32 s12, s12, 0x4f7ffffe
	s_delay_alu instid0(SALU_CYCLE_3) | instskip(SKIP_1) | instid1(SALU_CYCLE_1)
	s_cvt_u32_f32 s14, s12
	s_mul_u64 s[12:13], s[16:17], s[10:11]
	s_sub_nc_u64 s[12:13], s[2:3], s[12:13]
	s_delay_alu instid0(SALU_CYCLE_1)
	s_mul_i32 s15, s15, s14
	s_abs_i32 s18, s12
	s_mul_hi_u32 s15, s14, s15
	s_xor_b32 s20, s12, s10
	s_add_co_i32 s14, s14, s15
	s_ashr_i32 s15, s4, 31
	s_mul_hi_u32 s14, s18, s14
	s_ashr_i32 s20, s20, 31
	s_mul_i32 s21, s14, s7
	s_delay_alu instid0(SALU_CYCLE_1)
	s_sub_co_i32 s18, s18, s21
	s_add_co_i32 s21, s14, 1
	s_sub_co_i32 s22, s18, s7
	s_cmp_ge_u32 s18, s7
	s_cselect_b32 s14, s21, s14
	s_cselect_b32 s18, s22, s18
	s_add_co_i32 s21, s14, 1
	s_cmp_ge_u32 s18, s7
	s_cselect_b32 s7, s21, s14
	s_mov_b32 s14, s4
	s_xor_b32 s7, s7, s20
	s_delay_alu instid0(SALU_CYCLE_1) | instskip(NEXT) | instid1(SALU_CYCLE_1)
	s_sub_co_i32 s18, s7, s20
	s_mul_i32 s7, s18, s10
	s_delay_alu instid0(SALU_CYCLE_1) | instskip(NEXT) | instid1(SALU_CYCLE_1)
	s_sub_co_i32 s20, s12, s7
	s_ashr_i32 s21, s20, 31
	s_delay_alu instid0(SALU_CYCLE_1) | instskip(NEXT) | instid1(SALU_CYCLE_1)
	s_mul_u64 s[22:23], s[20:21], s[14:15]
	s_or_b64 s[20:21], s[22:23], s[10:11]
	s_delay_alu instid0(SALU_CYCLE_1) | instskip(NEXT) | instid1(SALU_CYCLE_1)
	s_and_b64 s[20:21], s[20:21], 0xffffffff00000000
	s_cmp_lg_u64 s[20:21], 0
	s_cbranch_scc0 .LBB3_53
; %bb.4:
	s_ashr_i32 s20, s11, 31
	s_delay_alu instid0(SALU_CYCLE_1) | instskip(NEXT) | instid1(SALU_CYCLE_1)
	s_mov_b32 s21, s20
	s_add_nc_u64 s[26:27], s[10:11], s[20:21]
	s_delay_alu instid0(SALU_CYCLE_1) | instskip(NEXT) | instid1(SALU_CYCLE_1)
	s_xor_b64 s[26:27], s[26:27], s[20:21]
	s_cvt_f32_u32 s7, s26
	s_cvt_f32_u32 s24, s27
	s_sub_nc_u64 s[30:31], 0, s[26:27]
	s_delay_alu instid0(SALU_CYCLE_2) | instskip(NEXT) | instid1(SALU_CYCLE_3)
	s_fmamk_f32 s7, s24, 0x4f800000, s7
	v_s_rcp_f32 s7, s7
	s_delay_alu instid0(TRANS32_DEP_1) | instskip(NEXT) | instid1(SALU_CYCLE_3)
	s_mul_f32 s7, s7, 0x5f7ffffc
	s_mul_f32 s24, s7, 0x2f800000
	s_delay_alu instid0(SALU_CYCLE_3) | instskip(NEXT) | instid1(SALU_CYCLE_3)
	s_trunc_f32 s24, s24
	s_fmamk_f32 s7, s24, 0xcf800000, s7
	s_cvt_u32_f32 s29, s24
	s_delay_alu instid0(SALU_CYCLE_2) | instskip(NEXT) | instid1(SALU_CYCLE_3)
	s_cvt_u32_f32 s28, s7
	s_mul_u64 s[34:35], s[30:31], s[28:29]
	s_delay_alu instid0(SALU_CYCLE_1)
	s_mul_hi_u32 s37, s28, s35
	s_mul_i32 s36, s28, s35
	s_mul_hi_u32 s24, s28, s34
	s_mul_i32 s33, s29, s34
	s_add_nc_u64 s[36:37], s[24:25], s[36:37]
	s_mul_hi_u32 s7, s29, s34
	s_mul_hi_u32 s38, s29, s35
	s_add_co_u32 s24, s36, s33
	s_add_co_ci_u32 s24, s37, s7
	s_mul_i32 s34, s29, s35
	s_add_co_ci_u32 s35, s38, 0
	s_delay_alu instid0(SALU_CYCLE_1) | instskip(NEXT) | instid1(SALU_CYCLE_1)
	s_add_nc_u64 s[34:35], s[24:25], s[34:35]
	s_add_co_u32 s28, s28, s34
	s_cselect_b32 s7, -1, 0
	s_delay_alu instid0(SALU_CYCLE_1) | instskip(SKIP_1) | instid1(SALU_CYCLE_1)
	s_cmp_lg_u32 s7, 0
	s_add_co_ci_u32 s29, s29, s35
	s_mul_u64 s[30:31], s[30:31], s[28:29]
	s_delay_alu instid0(SALU_CYCLE_1)
	s_mul_hi_u32 s35, s28, s31
	s_mul_i32 s34, s28, s31
	s_mul_hi_u32 s24, s28, s30
	s_mul_i32 s33, s29, s30
	s_add_nc_u64 s[34:35], s[24:25], s[34:35]
	s_mul_hi_u32 s7, s29, s30
	s_mul_hi_u32 s36, s29, s31
	s_add_co_u32 s24, s34, s33
	s_add_co_ci_u32 s24, s35, s7
	s_mul_i32 s30, s29, s31
	s_add_co_ci_u32 s31, s36, 0
	s_delay_alu instid0(SALU_CYCLE_1) | instskip(NEXT) | instid1(SALU_CYCLE_1)
	s_add_nc_u64 s[30:31], s[24:25], s[30:31]
	s_add_co_u32 s7, s28, s30
	s_cselect_b32 s24, -1, 0
	s_delay_alu instid0(SALU_CYCLE_1) | instskip(SKIP_2) | instid1(SALU_CYCLE_1)
	s_cmp_lg_u32 s24, 0
	s_add_co_ci_u32 s33, s29, s31
	s_ashr_i32 s28, s23, 31
	s_mov_b32 s29, s28
	s_delay_alu instid0(SALU_CYCLE_1) | instskip(NEXT) | instid1(SALU_CYCLE_1)
	s_add_nc_u64 s[30:31], s[22:23], s[28:29]
	s_xor_b64 s[30:31], s[30:31], s[28:29]
	s_delay_alu instid0(SALU_CYCLE_1)
	s_mul_hi_u32 s35, s30, s33
	s_mul_i32 s34, s30, s33
	s_mul_hi_u32 s24, s30, s7
	s_mul_hi_u32 s37, s31, s7
	s_mul_i32 s7, s31, s7
	s_add_nc_u64 s[34:35], s[24:25], s[34:35]
	s_mul_hi_u32 s23, s31, s33
	s_add_co_u32 s7, s34, s7
	s_add_co_ci_u32 s24, s35, s37
	s_mul_i32 s36, s31, s33
	s_add_co_ci_u32 s37, s23, 0
	s_delay_alu instid0(SALU_CYCLE_1) | instskip(NEXT) | instid1(SALU_CYCLE_1)
	s_add_nc_u64 s[34:35], s[24:25], s[36:37]
	s_and_b64 s[36:37], s[34:35], 0xffffffff00000000
	s_delay_alu instid0(SALU_CYCLE_1) | instskip(NEXT) | instid1(SALU_CYCLE_1)
	s_or_b32 s36, s36, s34
	s_mul_u64 s[34:35], s[26:27], s[36:37]
	s_add_nc_u64 s[38:39], s[36:37], 1
	s_sub_co_u32 s7, s30, s34
	s_cselect_b32 s23, -1, 0
	s_sub_co_i32 s24, s31, s35
	s_cmp_lg_u32 s23, 0
	s_add_nc_u64 s[40:41], s[36:37], 2
	s_sub_co_ci_u32 s24, s24, s27
	s_sub_co_u32 s30, s7, s26
	s_cselect_b32 s33, -1, 0
	s_delay_alu instid0(SALU_CYCLE_1) | instskip(SKIP_1) | instid1(SALU_CYCLE_1)
	s_cmp_lg_u32 s33, 0
	s_sub_co_ci_u32 s24, s24, 0
	s_cmp_ge_u32 s24, s27
	s_cselect_b32 s33, -1, 0
	s_cmp_ge_u32 s30, s26
	s_cselect_b32 s30, -1, 0
	s_cmp_eq_u32 s24, s27
	s_cselect_b32 s24, s30, s33
	s_delay_alu instid0(SALU_CYCLE_1) | instskip(SKIP_4) | instid1(SALU_CYCLE_1)
	s_cmp_lg_u32 s24, 0
	s_cselect_b32 s24, s40, s38
	s_cselect_b32 s30, s41, s39
	s_cmp_lg_u32 s23, 0
	s_sub_co_ci_u32 s23, s31, s35
	s_cmp_ge_u32 s23, s27
	s_cselect_b32 s31, -1, 0
	s_cmp_ge_u32 s7, s26
	s_cselect_b32 s7, -1, 0
	s_cmp_eq_u32 s23, s27
	s_cselect_b32 s7, s7, s31
	s_delay_alu instid0(SALU_CYCLE_1) | instskip(SKIP_3) | instid1(SALU_CYCLE_1)
	s_cmp_lg_u32 s7, 0
	s_cselect_b32 s27, s30, s37
	s_cselect_b32 s26, s24, s36
	s_xor_b64 s[20:21], s[28:29], s[20:21]
	s_xor_b64 s[26:27], s[26:27], s[20:21]
	s_delay_alu instid0(SALU_CYCLE_1)
	s_sub_nc_u64 s[20:21], s[26:27], s[20:21]
	s_and_not1_b32 vcc_lo, exec_lo, s25
	s_cbranch_vccnz .LBB3_6
.LBB3_5:
	v_cvt_f32_u32_e32 v1, s10
	s_sub_co_i32 s20, 0, s10
	s_delay_alu instid0(VALU_DEP_1) | instskip(SKIP_1) | instid1(TRANS32_DEP_1)
	v_rcp_iflag_f32_e32 v1, v1
	v_nop
	v_mul_f32_e32 v1, 0x4f7ffffe, v1
	s_delay_alu instid0(VALU_DEP_1) | instskip(NEXT) | instid1(VALU_DEP_1)
	v_cvt_u32_f32_e32 v1, v1
	v_readfirstlane_b32 s7, v1
	s_mul_i32 s20, s20, s7
	s_delay_alu instid0(SALU_CYCLE_1) | instskip(NEXT) | instid1(SALU_CYCLE_1)
	s_mul_hi_u32 s20, s7, s20
	s_add_co_i32 s7, s7, s20
	s_delay_alu instid0(SALU_CYCLE_1) | instskip(NEXT) | instid1(SALU_CYCLE_1)
	s_mul_hi_u32 s7, s22, s7
	s_mul_i32 s20, s7, s10
	s_add_co_i32 s21, s7, 1
	s_sub_co_i32 s20, s22, s20
	s_delay_alu instid0(SALU_CYCLE_1)
	s_sub_co_i32 s22, s20, s10
	s_cmp_ge_u32 s20, s10
	s_cselect_b32 s7, s21, s7
	s_cselect_b32 s20, s22, s20
	s_add_co_i32 s22, s7, 1
	s_cmp_ge_u32 s20, s10
	s_mov_b32 s21, 0
	s_cselect_b32 s20, s22, s7
.LBB3_6:
	s_add_nc_u64 s[12:13], s[12:13], 1
	s_delay_alu instid0(SALU_CYCLE_1) | instskip(NEXT) | instid1(SALU_CYCLE_1)
	s_mul_u64 s[12:13], s[12:13], s[14:15]
	s_add_nc_u64 s[12:13], s[12:13], -1
	s_delay_alu instid0(SALU_CYCLE_1) | instskip(NEXT) | instid1(SALU_CYCLE_1)
	s_or_b64 s[22:23], s[12:13], s[10:11]
	s_and_b64 s[22:23], s[22:23], 0xffffffff00000000
	s_delay_alu instid0(SALU_CYCLE_1)
	s_cmp_lg_u64 s[22:23], 0
	s_cbranch_scc0 .LBB3_54
; %bb.7:
	s_ashr_i32 s22, s11, 31
	s_delay_alu instid0(SALU_CYCLE_1) | instskip(NEXT) | instid1(SALU_CYCLE_1)
	s_mov_b32 s23, s22
	s_add_nc_u64 s[24:25], s[10:11], s[22:23]
	s_delay_alu instid0(SALU_CYCLE_1) | instskip(SKIP_4) | instid1(SALU_CYCLE_2)
	s_xor_b64 s[26:27], s[24:25], s[22:23]
	s_mov_b32 s25, 0
	s_cvt_f32_u32 s7, s26
	s_cvt_f32_u32 s11, s27
	s_sub_nc_u64 s[30:31], 0, s[26:27]
	s_fmamk_f32 s7, s11, 0x4f800000, s7
	s_delay_alu instid0(SALU_CYCLE_3) | instskip(NEXT) | instid1(TRANS32_DEP_1)
	v_s_rcp_f32 s7, s7
	s_mul_f32 s7, s7, 0x5f7ffffc
	s_delay_alu instid0(SALU_CYCLE_3) | instskip(NEXT) | instid1(SALU_CYCLE_3)
	s_mul_f32 s11, s7, 0x2f800000
	s_trunc_f32 s11, s11
	s_delay_alu instid0(SALU_CYCLE_3) | instskip(SKIP_1) | instid1(SALU_CYCLE_2)
	s_fmamk_f32 s7, s11, 0xcf800000, s7
	s_cvt_u32_f32 s29, s11
	s_cvt_u32_f32 s28, s7
	s_delay_alu instid0(SALU_CYCLE_3) | instskip(NEXT) | instid1(SALU_CYCLE_1)
	s_mul_u64 s[34:35], s[30:31], s[28:29]
	s_mul_hi_u32 s37, s28, s35
	s_mul_i32 s36, s28, s35
	s_mul_hi_u32 s24, s28, s34
	s_mul_i32 s11, s29, s34
	s_add_nc_u64 s[36:37], s[24:25], s[36:37]
	s_mul_hi_u32 s7, s29, s34
	s_mul_hi_u32 s33, s29, s35
	s_add_co_u32 s11, s36, s11
	s_add_co_ci_u32 s24, s37, s7
	s_mul_i32 s34, s29, s35
	s_add_co_ci_u32 s35, s33, 0
	s_delay_alu instid0(SALU_CYCLE_1) | instskip(NEXT) | instid1(SALU_CYCLE_1)
	s_add_nc_u64 s[34:35], s[24:25], s[34:35]
	s_add_co_u32 s28, s28, s34
	s_cselect_b32 s7, -1, 0
	s_delay_alu instid0(SALU_CYCLE_1) | instskip(SKIP_1) | instid1(SALU_CYCLE_1)
	s_cmp_lg_u32 s7, 0
	s_add_co_ci_u32 s29, s29, s35
	s_mul_u64 s[30:31], s[30:31], s[28:29]
	s_delay_alu instid0(SALU_CYCLE_1)
	s_mul_hi_u32 s35, s28, s31
	s_mul_i32 s34, s28, s31
	s_mul_hi_u32 s24, s28, s30
	s_mul_i32 s11, s29, s30
	s_add_nc_u64 s[34:35], s[24:25], s[34:35]
	s_mul_hi_u32 s7, s29, s30
	s_mul_hi_u32 s33, s29, s31
	s_add_co_u32 s11, s34, s11
	s_add_co_ci_u32 s24, s35, s7
	s_mul_i32 s30, s29, s31
	s_add_co_ci_u32 s31, s33, 0
	s_delay_alu instid0(SALU_CYCLE_1) | instskip(NEXT) | instid1(SALU_CYCLE_1)
	s_add_nc_u64 s[30:31], s[24:25], s[30:31]
	s_add_co_u32 s7, s28, s30
	s_cselect_b32 s11, -1, 0
	s_delay_alu instid0(SALU_CYCLE_1) | instskip(SKIP_2) | instid1(SALU_CYCLE_1)
	s_cmp_lg_u32 s11, 0
	s_add_co_ci_u32 s11, s29, s31
	s_ashr_i32 s28, s13, 31
	s_mov_b32 s29, s28
	s_delay_alu instid0(SALU_CYCLE_1) | instskip(NEXT) | instid1(SALU_CYCLE_1)
	s_add_nc_u64 s[30:31], s[12:13], s[28:29]
	s_xor_b64 s[30:31], s[30:31], s[28:29]
	s_delay_alu instid0(SALU_CYCLE_1)
	s_mul_hi_u32 s35, s30, s11
	s_mul_i32 s34, s30, s11
	s_mul_hi_u32 s24, s30, s7
	s_mul_hi_u32 s33, s31, s7
	s_mul_i32 s7, s31, s7
	s_add_nc_u64 s[34:35], s[24:25], s[34:35]
	s_mul_hi_u32 s13, s31, s11
	s_add_co_u32 s7, s34, s7
	s_add_co_ci_u32 s24, s35, s33
	s_mul_i32 s36, s31, s11
	s_add_co_ci_u32 s37, s13, 0
	s_delay_alu instid0(SALU_CYCLE_1) | instskip(NEXT) | instid1(SALU_CYCLE_1)
	s_add_nc_u64 s[34:35], s[24:25], s[36:37]
	s_and_b64 s[36:37], s[34:35], 0xffffffff00000000
	s_delay_alu instid0(SALU_CYCLE_1) | instskip(NEXT) | instid1(SALU_CYCLE_1)
	s_or_b32 s36, s36, s34
	s_mul_u64 s[34:35], s[26:27], s[36:37]
	s_add_nc_u64 s[38:39], s[36:37], 1
	s_sub_co_u32 s7, s30, s34
	s_cselect_b32 s11, -1, 0
	s_sub_co_i32 s13, s31, s35
	s_cmp_lg_u32 s11, 0
	s_add_nc_u64 s[40:41], s[36:37], 2
	s_sub_co_ci_u32 s13, s13, s27
	s_sub_co_u32 s24, s7, s26
	s_cselect_b32 s30, -1, 0
	s_delay_alu instid0(SALU_CYCLE_1) | instskip(SKIP_1) | instid1(SALU_CYCLE_1)
	s_cmp_lg_u32 s30, 0
	s_sub_co_ci_u32 s13, s13, 0
	s_cmp_ge_u32 s13, s27
	s_cselect_b32 s30, -1, 0
	s_cmp_ge_u32 s24, s26
	s_cselect_b32 s24, -1, 0
	s_cmp_eq_u32 s13, s27
	s_cselect_b32 s13, s24, s30
	s_delay_alu instid0(SALU_CYCLE_1) | instskip(SKIP_4) | instid1(SALU_CYCLE_1)
	s_cmp_lg_u32 s13, 0
	s_cselect_b32 s13, s40, s38
	s_cselect_b32 s24, s41, s39
	s_cmp_lg_u32 s11, 0
	s_sub_co_ci_u32 s11, s31, s35
	s_cmp_ge_u32 s11, s27
	s_cselect_b32 s30, -1, 0
	s_cmp_ge_u32 s7, s26
	s_cselect_b32 s7, -1, 0
	s_cmp_eq_u32 s11, s27
	s_cselect_b32 s7, s7, s30
	s_delay_alu instid0(SALU_CYCLE_1) | instskip(SKIP_3) | instid1(SALU_CYCLE_1)
	s_cmp_lg_u32 s7, 0
	s_cselect_b32 s27, s24, s37
	s_cselect_b32 s26, s13, s36
	s_xor_b64 s[22:23], s[28:29], s[22:23]
	s_xor_b64 s[26:27], s[26:27], s[22:23]
	s_delay_alu instid0(SALU_CYCLE_1)
	s_sub_nc_u64 s[22:23], s[26:27], s[22:23]
	s_load_b32 s7, s[0:1], 0x64
	s_cbranch_execnz .LBB3_9
.LBB3_8:
	v_cvt_f32_u32_e32 v1, s10
	s_sub_co_i32 s13, 0, s10
	s_delay_alu instid0(VALU_DEP_1) | instskip(SKIP_1) | instid1(TRANS32_DEP_1)
	v_rcp_iflag_f32_e32 v1, v1
	v_nop
	v_mul_f32_e32 v1, 0x4f7ffffe, v1
	s_delay_alu instid0(VALU_DEP_1) | instskip(NEXT) | instid1(VALU_DEP_1)
	v_cvt_u32_f32_e32 v1, v1
	v_readfirstlane_b32 s11, v1
	s_mul_i32 s13, s13, s11
	s_delay_alu instid0(SALU_CYCLE_1) | instskip(NEXT) | instid1(SALU_CYCLE_1)
	s_mul_hi_u32 s13, s11, s13
	s_add_co_i32 s11, s11, s13
	s_delay_alu instid0(SALU_CYCLE_1) | instskip(NEXT) | instid1(SALU_CYCLE_1)
	s_mul_hi_u32 s11, s12, s11
	s_mul_i32 s13, s11, s10
	s_delay_alu instid0(SALU_CYCLE_1)
	s_sub_co_i32 s12, s12, s13
	s_add_co_i32 s13, s11, 1
	s_sub_co_i32 s22, s12, s10
	s_cmp_ge_u32 s12, s10
	s_cselect_b32 s11, s13, s11
	s_cselect_b32 s12, s22, s12
	s_add_co_i32 s13, s11, 1
	s_cmp_ge_u32 s12, s10
	s_cselect_b32 s22, s13, s11
.LBB3_9:
	s_bfe_u32 s10, ttmp6, 0x40010
	s_bfe_u32 s12, ttmp6, 0x40004
	s_add_co_i32 s10, s10, 1
	s_wait_kmcnt 0x0
	s_lshr_b32 s11, s7, 16
	s_mul_i32 s10, ttmp7, s10
	v_bfe_u32 v1, v0, 10, 10
	s_add_co_i32 s12, s12, s10
	s_cmp_eq_u32 s19, 0
	s_cselect_b32 s10, ttmp7, s12
	s_mov_b32 s12, exec_lo
	v_mad_u32 v2, s10, s11, v1
	s_mov_b32 s10, 0
	s_delay_alu instid0(VALU_DEP_1)
	v_cmpx_gt_i32_e64 s8, v2
	s_cbranch_execz .LBB3_51
; %bb.10:
	s_mov_b32 s19, s10
	s_ashr_i32 s13, s8, 31
	s_mul_u64 s[14:15], s[18:19], s[14:15]
	s_mov_b32 s12, s8
	s_add_nc_u64 s[24:25], s[20:21], s[14:15]
	s_ashr_i32 s15, s9, 31
	s_mov_b32 s14, s9
	s_sub_co_i32 s33, s22, s24
	s_mul_u64 s[22:23], s[14:15], s[12:13]
	s_add_co_i32 s33, s33, 1
	s_mul_u64 s[2:3], s[22:23], s[2:3]
	s_bfe_i64 s[26:27], s[16:17], 0x200000
	s_bfe_i64 s[28:29], s[24:25], 0x200000
	s_lshl_b64 s[22:23], s[2:3], 1
	s_lshl_b64 s[2:3], s[2:3], 3
	s_and_b32 s40, s7, 0xffff
	s_ashr_i32 s17, s5, 31
	s_ashr_i32 s7, s6, 31
	s_cmp_gt_i32 s33, 0
	v_cvt_f32_u32_e32 v3, s12
	s_cselect_b32 s41, -1, 0
	s_ashr_i32 s42, s8, 31
	v_and_b32_e32 v22, 0x3ff, v0
	s_add_co_i32 s16, s8, s42
	v_rcp_iflag_f32_e32 v3, v3
	s_xor_b32 s43, s16, s42
	s_clause 0x2
	s_load_b32 s46, s[0:1], 0x5c
	s_load_b128 s[36:39], s[0:1], 0x0
	s_load_b64 s[30:31], s[0:1], 0x10
	v_cvt_f32_u32_e32 v1, s43
	s_load_b256 s[48:55], s[0:1], 0x30
	s_wait_xcnt 0x0
	s_sub_co_i32 s0, 0, s43
	s_sub_co_i32 s1, 0, s8
	v_mul_f32_e32 v3, 0x4f7ffffe, v3
	v_rcp_iflag_f32_e32 v1, v1
	s_mul_i32 s45, s4, s18
	s_mov_b32 s16, s5
	s_add_co_i32 s45, s45, s20
	v_cvt_u32_f32_e32 v3, v3
	s_mov_b64 s[18:19], 0xffffffff
	s_mul_i32 s44, s5, s24
	v_mul_f32_e32 v1, 0x4f7ffffe, v1
	s_mul_i32 s47, s6, s5
	v_mul_lo_u32 v5, s1, v3
	s_ashr_i32 s34, s13, 31
	s_delay_alu instid0(VALU_DEP_2)
	v_cvt_u32_f32_e32 v0, v1
	s_wait_kmcnt 0x0
	s_add_nc_u64 s[20:21], s[38:39], s[22:23]
	s_add_nc_u64 s[22:23], s[30:31], s[2:3]
	s_mul_i32 s46, s46, s11
	s_mul_u64 s[2:3], s[50:51], s[28:29]
	v_mul_lo_u32 v4, s0, v0
	s_mul_u64 s[26:27], s[48:49], s[26:27]
	s_lshl_b64 s[2:3], s[2:3], 1
	v_mul_hi_u32 v5, v3, v5
	s_lshl_b64 s[28:29], s[26:27], 1
	v_cmp_gt_i32_e64 s0, s9, v22
	s_add_nc_u64 s[2:3], s[2:3], s[28:29]
	s_lshl_b64 s[24:25], s[52:53], 1
	s_lshl_b64 s[26:27], s[54:55], 1
	;; [unrolled: 1-line block ×3, first 2 shown]
	s_add_nc_u64 s[30:31], s[36:37], s[2:3]
	v_mul_hi_u32 v4, v0, v4
	v_mov_b32_e32 v1, 0
	s_mov_b32 s48, 0
	s_delay_alu instid0(VALU_DEP_2)
	v_dual_add_nc_u32 v24, v3, v5 :: v_dual_add_nc_u32 v23, v0, v4
	s_branch .LBB3_12
.LBB3_11:                               ;   in Loop: Header=BB3_12 Depth=1
	s_or_b32 exec_lo, exec_lo, s35
	v_add_nc_u32_e32 v2, s46, v2
	s_delay_alu instid0(VALU_DEP_1) | instskip(SKIP_1) | instid1(SALU_CYCLE_1)
	v_cmp_le_i32_e32 vcc_lo, s8, v2
	s_or_b32 s48, vcc_lo, s48
	s_and_not1_b32 exec_lo, exec_lo, s48
	s_cbranch_execz .LBB3_51
.LBB3_12:                               ; =>This Loop Header: Depth=1
                                        ;     Child Loop BB3_28 Depth 2
                                        ;       Child Loop BB3_44 Depth 3
                                        ;         Child Loop BB3_47 Depth 4
                                        ;           Child Loop BB3_49 Depth 5
	s_delay_alu instid0(VALU_DEP_2) | instskip(SKIP_1) | instid1(VALU_DEP_1)
	v_dual_mov_b32 v4, v1 :: v_dual_ashrrev_i32 v3, 31, v2
	s_mov_b32 s1, exec_lo
                                        ; implicit-def: $vgpr6_vgpr7
	v_or_b32_e32 v5, s13, v3
	s_delay_alu instid0(VALU_DEP_1)
	v_cmpx_ne_u64_e32 0, v[4:5]
	s_xor_b32 s1, exec_lo, s1
	s_cbranch_execz .LBB3_14
; %bb.13:                               ;   in Loop: Header=BB3_12 Depth=1
	v_ashrrev_i32_e32 v0, 31, v2
	s_delay_alu instid0(VALU_DEP_1) | instskip(NEXT) | instid1(VALU_DEP_1)
	v_add_nc_u32_e32 v4, v2, v0
	v_xor_b32_e32 v4, v4, v0
	s_delay_alu instid0(VALU_DEP_1) | instskip(NEXT) | instid1(VALU_DEP_1)
	v_mul_hi_u32 v5, v4, v23
	v_mul_lo_u32 v6, v5, s43
	s_delay_alu instid0(VALU_DEP_1) | instskip(SKIP_1) | instid1(VALU_DEP_2)
	v_dual_sub_nc_u32 v4, v4, v6 :: v_dual_add_nc_u32 v6, 1, v5
	v_xor_b32_e32 v0, s42, v0
	v_subrev_nc_u32_e32 v7, s43, v4
	v_cmp_le_u32_e32 vcc_lo, s43, v4
	s_delay_alu instid0(VALU_DEP_2) | instskip(NEXT) | instid1(VALU_DEP_1)
	v_dual_cndmask_b32 v4, v4, v7 :: v_dual_cndmask_b32 v5, v5, v6
	v_cmp_le_u32_e32 vcc_lo, s43, v4
	s_delay_alu instid0(VALU_DEP_2) | instskip(NEXT) | instid1(VALU_DEP_1)
	v_add_nc_u32_e32 v6, 1, v5
	v_cndmask_b32_e32 v4, v5, v6, vcc_lo
	s_delay_alu instid0(VALU_DEP_1) | instskip(NEXT) | instid1(VALU_DEP_1)
	v_xor_b32_e32 v4, v4, v0
	v_sub_nc_u32_e32 v6, v4, v0
	s_delay_alu instid0(VALU_DEP_1)
	v_ashrrev_i32_e32 v7, 31, v6
.LBB3_14:                               ;   in Loop: Header=BB3_12 Depth=1
	s_and_not1_saveexec_b32 s1, s1
	s_cbranch_execz .LBB3_16
; %bb.15:                               ;   in Loop: Header=BB3_12 Depth=1
	v_mul_hi_u32 v0, v2, v24
	s_delay_alu instid0(VALU_DEP_1) | instskip(SKIP_1) | instid1(VALU_DEP_2)
	v_mul_lo_u32 v4, v0, s12
	v_add_nc_u32_e32 v5, 1, v0
	v_sub_nc_u32_e32 v4, v2, v4
	s_delay_alu instid0(VALU_DEP_1) | instskip(NEXT) | instid1(VALU_DEP_3)
	v_cmp_le_u32_e32 vcc_lo, s12, v4
	v_cndmask_b32_e32 v0, v0, v5, vcc_lo
	v_subrev_nc_u32_e32 v6, s12, v4
	s_delay_alu instid0(VALU_DEP_1) | instskip(NEXT) | instid1(VALU_DEP_1)
	v_dual_cndmask_b32 v4, v4, v6 :: v_dual_add_nc_u32 v5, 1, v0
	v_cmp_le_u32_e32 vcc_lo, s12, v4
	s_delay_alu instid0(VALU_DEP_2) | instskip(NEXT) | instid1(VALU_DEP_1)
	v_cndmask_b32_e32 v0, v0, v5, vcc_lo
	v_mov_b64_e32 v[6:7], v[0:1]
.LBB3_16:                               ;   in Loop: Header=BB3_12 Depth=1
	s_or_b32 exec_lo, exec_lo, s1
	s_delay_alu instid0(VALU_DEP_1) | instskip(SKIP_1) | instid1(VALU_DEP_2)
	v_mul_u64_e32 v[4:5], s[12:13], v[6:7]
	v_mov_b32_e32 v8, v1
	v_sub_nc_u64_e32 v[4:5], v[2:3], v[4:5]
	s_delay_alu instid0(VALU_DEP_1) | instskip(NEXT) | instid1(VALU_DEP_1)
	v_mul_u64_e32 v[4:5], s[16:17], v[4:5]
	v_or_b32_e32 v9, s13, v5
	s_delay_alu instid0(VALU_DEP_1) | instskip(SKIP_1) | instid1(SALU_CYCLE_1)
	v_cmp_ne_u64_e32 vcc_lo, 0, v[8:9]
                                        ; implicit-def: $vgpr8_vgpr9
	s_and_saveexec_b32 s1, vcc_lo
	s_xor_b32 s4, exec_lo, s1
	s_cbranch_execz .LBB3_18
; %bb.17:                               ;   in Loop: Header=BB3_12 Depth=1
	s_mov_b32 s35, s34
	s_mov_b32 s51, s10
	s_add_nc_u64 s[2:3], s[12:13], s[34:35]
	s_mov_b32 s55, s10
	s_xor_b64 s[2:3], s[2:3], s[34:35]
	v_dual_mov_b32 v13, v1 :: v_dual_ashrrev_i32 v8, 31, v5
	s_cvt_f32_u32 s1, s2
	s_cvt_f32_u32 s11, s3
	s_sub_nc_u64 s[38:39], 0, s[2:3]
	s_delay_alu instid0(VALU_DEP_1) | instskip(NEXT) | instid1(SALU_CYCLE_1)
	v_dual_mov_b32 v9, v8 :: v_dual_mov_b32 v17, v1
	s_fmamk_f32 s1, s11, 0x4f800000, s1
	s_delay_alu instid0(VALU_DEP_1) | instskip(NEXT) | instid1(SALU_CYCLE_2)
	v_add_nc_u64_e32 v[4:5], v[4:5], v[8:9]
	v_s_rcp_f32 s1, s1
	s_delay_alu instid0(VALU_DEP_1) | instskip(NEXT) | instid1(VALU_DEP_2)
	v_xor_b32_e32 v0, v4, v8
	v_xor_b32_e32 v12, v5, v8
	s_delay_alu instid0(TRANS32_DEP_1) | instskip(SKIP_1) | instid1(SALU_CYCLE_2)
	s_mul_f32 s1, s1, 0x5f7ffffc
	v_xor_b32_e32 v8, s34, v8
	s_mul_f32 s11, s1, 0x2f800000
	s_delay_alu instid0(SALU_CYCLE_3) | instskip(NEXT) | instid1(SALU_CYCLE_3)
	s_trunc_f32 s11, s11
	s_fmamk_f32 s1, s11, 0xcf800000, s1
	s_cvt_u32_f32 s37, s11
	s_delay_alu instid0(SALU_CYCLE_2) | instskip(NEXT) | instid1(SALU_CYCLE_3)
	s_cvt_u32_f32 s36, s1
	s_mul_u64 s[52:53], s[38:39], s[36:37]
	s_delay_alu instid0(SALU_CYCLE_1)
	s_mul_hi_u32 s57, s36, s53
	s_mul_i32 s56, s36, s53
	s_mul_hi_u32 s50, s36, s52
	s_mul_i32 s11, s37, s52
	s_add_nc_u64 s[50:51], s[50:51], s[56:57]
	s_mul_hi_u32 s1, s37, s52
	s_mul_hi_u32 s35, s37, s53
	s_add_co_u32 s11, s50, s11
	s_add_co_ci_u32 s54, s51, s1
	s_mul_i32 s52, s37, s53
	s_add_co_ci_u32 s53, s35, 0
	s_delay_alu instid0(SALU_CYCLE_1) | instskip(SKIP_3) | instid1(SALU_CYCLE_1)
	s_add_nc_u64 s[50:51], s[54:55], s[52:53]
	s_mov_b32 s53, s10
	s_add_co_u32 s36, s36, s50
	s_cselect_b32 s1, -1, 0
	s_cmp_lg_u32 s1, 0
	s_add_co_ci_u32 s37, s37, s51
	s_mov_b32 s51, s10
	s_mul_u64 s[38:39], s[38:39], s[36:37]
	s_delay_alu instid0(SALU_CYCLE_1)
	s_mul_hi_u32 s55, s36, s39
	s_mul_i32 s54, s36, s39
	s_mul_hi_u32 s52, s36, s38
	s_mul_i32 s11, s37, s38
	s_add_nc_u64 s[52:53], s[52:53], s[54:55]
	s_mul_hi_u32 s1, s37, s38
	s_mul_hi_u32 s35, s37, s39
	s_add_co_u32 s11, s52, s11
	s_add_co_ci_u32 s50, s53, s1
	s_mul_i32 s38, s37, s39
	s_add_co_ci_u32 s39, s35, 0
	s_delay_alu instid0(SALU_CYCLE_1) | instskip(NEXT) | instid1(SALU_CYCLE_1)
	s_add_nc_u64 s[38:39], s[50:51], s[38:39]
	s_add_co_u32 s36, s36, s38
	s_cselect_b32 s1, -1, 0
	v_mul_hi_u32 v16, v0, s36
	s_cmp_lg_u32 s1, 0
	s_add_co_ci_u32 s50, s37, s39
	s_and_b64 s[38:39], s[36:37], s[18:19]
	v_mul_u64_e32 v[10:11], s[50:51], v[0:1]
	v_mul_u64_e32 v[4:5], s[38:39], v[12:13]
	;; [unrolled: 1-line block ×3, first 2 shown]
	s_delay_alu instid0(VALU_DEP_3) | instskip(NEXT) | instid1(VALU_DEP_1)
	v_add_nc_u64_e32 v[10:11], v[16:17], v[10:11]
	v_add_co_u32 v4, vcc_lo, v10, v4
	s_delay_alu instid0(VALU_DEP_2) | instskip(NEXT) | instid1(VALU_DEP_4)
	v_add_co_ci_u32_e32 v16, vcc_lo, v11, v5, vcc_lo
	v_add_co_ci_u32_e32 v15, vcc_lo, 0, v15, vcc_lo
	s_delay_alu instid0(VALU_DEP_1) | instskip(NEXT) | instid1(VALU_DEP_1)
	v_add_nc_u64_e32 v[4:5], v[16:17], v[14:15]
	v_mul_u64_e32 v[10:11], s[2:3], v[4:5]
	s_delay_alu instid0(VALU_DEP_1) | instskip(NEXT) | instid1(VALU_DEP_2)
	v_sub_nc_u32_e32 v7, v12, v11
	v_sub_co_u32 v0, vcc_lo, v0, v10
	s_delay_alu instid0(VALU_DEP_1) | instskip(NEXT) | instid1(VALU_DEP_3)
	v_sub_co_ci_u32_e64 v14, null, v12, v11, vcc_lo
	v_subrev_co_ci_u32_e64 v7, null, s3, v7, vcc_lo
	s_delay_alu instid0(VALU_DEP_3) | instskip(SKIP_1) | instid1(VALU_DEP_3)
	v_sub_co_u32 v9, s1, v0, s2
	v_add_nc_u64_e32 v[12:13], 1, v[4:5]
	v_subrev_co_ci_u32_e64 v7, null, 0, v7, s1
	s_delay_alu instid0(VALU_DEP_3) | instskip(SKIP_1) | instid1(VALU_DEP_3)
	v_cmp_le_u32_e32 vcc_lo, s2, v9
	v_cndmask_b32_e64 v9, 0, -1, vcc_lo
	v_cmp_le_u32_e32 vcc_lo, s3, v7
	v_cndmask_b32_e64 v10, 0, -1, vcc_lo
	;; [unrolled: 2-line block ×4, first 2 shown]
	v_cmp_eq_u32_e32 vcc_lo, s3, v7
	v_cndmask_b32_e32 v7, v10, v9, vcc_lo
	v_cmp_eq_u32_e32 vcc_lo, s3, v14
	v_add_nc_u64_e32 v[10:11], 2, v[4:5]
	v_cndmask_b32_e32 v0, v15, v0, vcc_lo
	s_delay_alu instid0(VALU_DEP_4) | instskip(NEXT) | instid1(VALU_DEP_2)
	v_cmp_ne_u32_e32 vcc_lo, 0, v7
	v_cmp_ne_u32_e64 s1, 0, v0
	s_delay_alu instid0(VALU_DEP_4) | instskip(NEXT) | instid1(VALU_DEP_1)
	v_dual_cndmask_b32 v7, v13, v11 :: v_dual_cndmask_b32 v0, v12, v10
	v_dual_cndmask_b32 v5, v5, v7, s1 :: v_dual_cndmask_b32 v0, v4, v0, s1
	s_delay_alu instid0(VALU_DEP_1) | instskip(NEXT) | instid1(VALU_DEP_2)
	v_dual_mov_b32 v9, v8 :: v_dual_bitop2_b32 v5, v5, v8 bitop3:0x14
	v_xor_b32_e32 v4, v0, v8
	s_delay_alu instid0(VALU_DEP_1)
	v_sub_nc_u64_e32 v[8:9], v[4:5], v[8:9]
                                        ; implicit-def: $vgpr4_vgpr5
.LBB3_18:                               ;   in Loop: Header=BB3_12 Depth=1
	s_and_not1_saveexec_b32 s1, s4
	s_cbranch_execz .LBB3_20
; %bb.19:                               ;   in Loop: Header=BB3_12 Depth=1
	s_delay_alu instid0(VALU_DEP_3) | instskip(NEXT) | instid1(VALU_DEP_1)
	v_mul_hi_u32 v0, v4, v24
	v_mul_lo_u32 v5, v0, s12
	s_delay_alu instid0(VALU_DEP_1) | instskip(NEXT) | instid1(VALU_DEP_1)
	v_dual_sub_nc_u32 v4, v4, v5 :: v_dual_add_nc_u32 v5, 1, v0
	v_subrev_nc_u32_e32 v7, s12, v4
	v_cmp_le_u32_e32 vcc_lo, s12, v4
	s_delay_alu instid0(VALU_DEP_3) | instskip(NEXT) | instid1(VALU_DEP_1)
	v_cndmask_b32_e32 v0, v0, v5, vcc_lo
	v_dual_cndmask_b32 v4, v4, v7 :: v_dual_add_nc_u32 v5, 1, v0
	s_delay_alu instid0(VALU_DEP_1) | instskip(NEXT) | instid1(VALU_DEP_2)
	v_cmp_le_u32_e32 vcc_lo, s12, v4
	v_cndmask_b32_e32 v0, v0, v5, vcc_lo
	s_delay_alu instid0(VALU_DEP_1)
	v_mov_b64_e32 v[8:9], v[0:1]
.LBB3_20:                               ;   in Loop: Header=BB3_12 Depth=1
	s_or_b32 exec_lo, exec_lo, s1
	v_add_nc_u64_e32 v[10:11], 1, v[2:3]
	s_delay_alu instid0(VALU_DEP_1) | instskip(NEXT) | instid1(VALU_DEP_1)
	v_mad_nc_u64_u32 v[4:5], v10, s16, -1
	v_mad_u32 v0, v11, s16, v5
	s_delay_alu instid0(VALU_DEP_1) | instskip(NEXT) | instid1(VALU_DEP_1)
	v_mad_u32 v5, v10, s17, v0
	v_dual_mov_b32 v10, v1 :: v_dual_bitop2_b32 v11, s13, v5 bitop3:0x54
	s_delay_alu instid0(VALU_DEP_1) | instskip(SKIP_1) | instid1(SALU_CYCLE_1)
	v_cmp_ne_u64_e32 vcc_lo, 0, v[10:11]
                                        ; implicit-def: $vgpr10_vgpr11
	s_and_saveexec_b32 s1, vcc_lo
	s_xor_b32 s4, exec_lo, s1
	s_cbranch_execnz .LBB3_23
; %bb.21:                               ;   in Loop: Header=BB3_12 Depth=1
	s_and_not1_saveexec_b32 s1, s4
	s_cbranch_execnz .LBB3_24
.LBB3_22:                               ;   in Loop: Header=BB3_12 Depth=1
	s_or_b32 exec_lo, exec_lo, s1
	s_and_saveexec_b32 s35, s0
	s_cbranch_execz .LBB3_11
	s_branch .LBB3_25
.LBB3_23:                               ;   in Loop: Header=BB3_12 Depth=1
	s_mov_b32 s35, s34
	s_mov_b32 s51, s10
	s_add_nc_u64 s[2:3], s[12:13], s[34:35]
	s_mov_b32 s55, s10
	s_xor_b64 s[2:3], s[2:3], s[34:35]
	v_dual_mov_b32 v15, v1 :: v_dual_ashrrev_i32 v10, 31, v5
	s_cvt_f32_u32 s1, s2
	s_cvt_f32_u32 s11, s3
	s_sub_nc_u64 s[38:39], 0, s[2:3]
	s_delay_alu instid0(VALU_DEP_1) | instskip(NEXT) | instid1(SALU_CYCLE_1)
	v_mov_b32_e32 v11, v10
	s_fmamk_f32 s1, s11, 0x4f800000, s1
	s_delay_alu instid0(VALU_DEP_1) | instskip(NEXT) | instid1(SALU_CYCLE_2)
	v_add_nc_u64_e32 v[4:5], v[4:5], v[10:11]
	v_s_rcp_f32 s1, s1
	s_delay_alu instid0(VALU_DEP_1) | instskip(NEXT) | instid1(VALU_DEP_2)
	v_xor_b32_e32 v0, v4, v10
	v_xor_b32_e32 v14, v5, v10
	s_delay_alu instid0(TRANS32_DEP_1) | instskip(SKIP_1) | instid1(SALU_CYCLE_2)
	s_mul_f32 s1, s1, 0x5f7ffffc
	v_dual_mov_b32 v19, v1 :: v_dual_bitop2_b32 v10, s34, v10 bitop3:0x14
	s_mul_f32 s11, s1, 0x2f800000
	s_delay_alu instid0(SALU_CYCLE_3) | instskip(NEXT) | instid1(SALU_CYCLE_3)
	s_trunc_f32 s11, s11
	s_fmamk_f32 s1, s11, 0xcf800000, s1
	s_cvt_u32_f32 s37, s11
	s_delay_alu instid0(SALU_CYCLE_2) | instskip(NEXT) | instid1(SALU_CYCLE_3)
	s_cvt_u32_f32 s36, s1
	s_mul_u64 s[52:53], s[38:39], s[36:37]
	s_delay_alu instid0(SALU_CYCLE_1)
	s_mul_hi_u32 s57, s36, s53
	s_mul_i32 s56, s36, s53
	s_mul_hi_u32 s50, s36, s52
	s_mul_i32 s11, s37, s52
	s_add_nc_u64 s[50:51], s[50:51], s[56:57]
	s_mul_hi_u32 s1, s37, s52
	s_mul_hi_u32 s35, s37, s53
	s_add_co_u32 s11, s50, s11
	s_add_co_ci_u32 s54, s51, s1
	s_mul_i32 s52, s37, s53
	s_add_co_ci_u32 s53, s35, 0
	s_delay_alu instid0(SALU_CYCLE_1) | instskip(SKIP_3) | instid1(SALU_CYCLE_1)
	s_add_nc_u64 s[50:51], s[54:55], s[52:53]
	s_mov_b32 s53, s10
	s_add_co_u32 s36, s36, s50
	s_cselect_b32 s1, -1, 0
	s_cmp_lg_u32 s1, 0
	s_add_co_ci_u32 s37, s37, s51
	s_mov_b32 s51, s10
	s_mul_u64 s[38:39], s[38:39], s[36:37]
	s_delay_alu instid0(SALU_CYCLE_1)
	s_mul_hi_u32 s55, s36, s39
	s_mul_i32 s54, s36, s39
	s_mul_hi_u32 s52, s36, s38
	s_mul_i32 s11, s37, s38
	s_add_nc_u64 s[52:53], s[52:53], s[54:55]
	s_mul_hi_u32 s1, s37, s38
	s_mul_hi_u32 s35, s37, s39
	s_add_co_u32 s11, s52, s11
	s_add_co_ci_u32 s50, s53, s1
	s_mul_i32 s38, s37, s39
	s_add_co_ci_u32 s39, s35, 0
	s_delay_alu instid0(SALU_CYCLE_1) | instskip(NEXT) | instid1(SALU_CYCLE_1)
	s_add_nc_u64 s[38:39], s[50:51], s[38:39]
	s_add_co_u32 s36, s36, s38
	s_cselect_b32 s1, -1, 0
	v_mul_hi_u32 v18, v0, s36
	s_cmp_lg_u32 s1, 0
	s_add_co_ci_u32 s50, s37, s39
	s_and_b64 s[38:39], s[36:37], s[18:19]
	v_mul_u64_e32 v[12:13], s[50:51], v[0:1]
	v_mul_u64_e32 v[4:5], s[38:39], v[14:15]
	;; [unrolled: 1-line block ×3, first 2 shown]
	s_delay_alu instid0(VALU_DEP_3) | instskip(NEXT) | instid1(VALU_DEP_1)
	v_add_nc_u64_e32 v[12:13], v[18:19], v[12:13]
	v_add_co_u32 v3, vcc_lo, v12, v4
	s_delay_alu instid0(VALU_DEP_2) | instskip(NEXT) | instid1(VALU_DEP_4)
	v_add_co_ci_u32_e32 v18, vcc_lo, v13, v5, vcc_lo
	v_add_co_ci_u32_e32 v17, vcc_lo, 0, v17, vcc_lo
	s_delay_alu instid0(VALU_DEP_1) | instskip(NEXT) | instid1(VALU_DEP_1)
	v_add_nc_u64_e32 v[4:5], v[18:19], v[16:17]
	v_mul_u64_e32 v[12:13], s[2:3], v[4:5]
	s_delay_alu instid0(VALU_DEP_1) | instskip(NEXT) | instid1(VALU_DEP_2)
	v_sub_nc_u32_e32 v3, v14, v13
	v_sub_co_u32 v0, vcc_lo, v0, v12
	s_delay_alu instid0(VALU_DEP_1) | instskip(NEXT) | instid1(VALU_DEP_3)
	v_sub_co_ci_u32_e64 v11, null, v14, v13, vcc_lo
	v_subrev_co_ci_u32_e64 v3, null, s3, v3, vcc_lo
	s_delay_alu instid0(VALU_DEP_3) | instskip(SKIP_1) | instid1(VALU_DEP_3)
	v_sub_co_u32 v7, s1, v0, s2
	v_add_nc_u64_e32 v[14:15], 1, v[4:5]
	v_subrev_co_ci_u32_e64 v3, null, 0, v3, s1
	s_delay_alu instid0(VALU_DEP_3) | instskip(SKIP_1) | instid1(VALU_DEP_3)
	v_cmp_le_u32_e32 vcc_lo, s2, v7
	v_cndmask_b32_e64 v7, 0, -1, vcc_lo
	v_cmp_le_u32_e32 vcc_lo, s3, v3
	v_cndmask_b32_e64 v12, 0, -1, vcc_lo
	;; [unrolled: 2-line block ×4, first 2 shown]
	v_cmp_eq_u32_e32 vcc_lo, s3, v3
	v_cndmask_b32_e32 v3, v12, v7, vcc_lo
	v_cmp_eq_u32_e32 vcc_lo, s3, v11
	v_add_nc_u64_e32 v[12:13], 2, v[4:5]
	v_cndmask_b32_e32 v0, v16, v0, vcc_lo
	s_delay_alu instid0(VALU_DEP_4) | instskip(NEXT) | instid1(VALU_DEP_3)
	v_cmp_ne_u32_e32 vcc_lo, 0, v3
	v_cndmask_b32_e32 v3, v15, v13, vcc_lo
	s_delay_alu instid0(VALU_DEP_3) | instskip(NEXT) | instid1(VALU_DEP_1)
	v_cmp_ne_u32_e64 s1, 0, v0
	v_dual_cndmask_b32 v0, v14, v12, vcc_lo :: v_dual_cndmask_b32 v3, v5, v3, s1
	s_delay_alu instid0(VALU_DEP_1) | instskip(NEXT) | instid1(VALU_DEP_2)
	v_dual_cndmask_b32 v0, v4, v0, s1 :: v_dual_mov_b32 v11, v10
	v_xor_b32_e32 v5, v3, v10
	s_delay_alu instid0(VALU_DEP_2) | instskip(NEXT) | instid1(VALU_DEP_1)
	v_xor_b32_e32 v4, v0, v10
	v_sub_nc_u64_e32 v[10:11], v[4:5], v[10:11]
                                        ; implicit-def: $vgpr4_vgpr5
	s_and_not1_saveexec_b32 s1, s4
	s_cbranch_execz .LBB3_22
.LBB3_24:                               ;   in Loop: Header=BB3_12 Depth=1
	v_mul_hi_u32 v0, v4, v24
	s_delay_alu instid0(VALU_DEP_1) | instskip(NEXT) | instid1(VALU_DEP_1)
	v_mul_lo_u32 v3, v0, s12
	v_dual_sub_nc_u32 v3, v4, v3 :: v_dual_add_nc_u32 v4, 1, v0
	s_delay_alu instid0(VALU_DEP_1) | instskip(SKIP_1) | instid1(VALU_DEP_2)
	v_subrev_nc_u32_e32 v5, s12, v3
	v_cmp_le_u32_e32 vcc_lo, s12, v3
	v_dual_cndmask_b32 v3, v3, v5 :: v_dual_cndmask_b32 v0, v0, v4
	s_delay_alu instid0(VALU_DEP_1) | instskip(NEXT) | instid1(VALU_DEP_2)
	v_cmp_le_u32_e32 vcc_lo, s12, v3
	v_add_nc_u32_e32 v4, 1, v0
	s_delay_alu instid0(VALU_DEP_1)
	v_cndmask_b32_e32 v10, v0, v4, vcc_lo
	s_or_b32 exec_lo, exec_lo, s1
	s_and_saveexec_b32 s35, s0
	s_cbranch_execz .LBB3_11
.LBB3_25:                               ;   in Loop: Header=BB3_12 Depth=1
	v_mad_nc_u64_u32 v[12:13], v6, s16, v[8:9]
	v_mul_lo_u32 v14, v2, s9
	s_mov_b32 s49, 0
	v_add_nc_u32_e32 v6, s45, v6
	s_delay_alu instid0(VALU_DEP_1) | instskip(NEXT) | instid1(VALU_DEP_4)
	v_mad_u32 v26, s5, v6, v8
	v_mad_nc_u64_u32 v[4:5], s24, v12, s[30:31]
	v_dual_sub_nc_u32 v3, v10, v12 :: v_dual_ashrrev_i32 v7, 31, v12
	s_delay_alu instid0(VALU_DEP_2) | instskip(SKIP_1) | instid1(VALU_DEP_3)
	v_mad_u32 v0, s25, v12, v5
	v_dual_add_nc_u32 v5, s44, v12 :: v_dual_ashrrev_i32 v15, 31, v14
	v_add_nc_u32_e32 v3, 1, v3
	s_delay_alu instid0(VALU_DEP_2) | instskip(NEXT) | instid1(VALU_DEP_3)
	v_mul_lo_u32 v25, v5, s6
	v_lshl_add_u64 v[8:9], v[14:15], 3, s[22:23]
	s_delay_alu instid0(VALU_DEP_3)
	v_cmp_lt_i32_e64 s1, 0, v3
	v_mad_u32 v5, s24, v7, v0
	v_lshl_add_u64 v[6:7], v[14:15], 1, s[20:21]
	v_mov_b32_e32 v0, v22
	s_branch .LBB3_28
.LBB3_26:                               ;   in Loop: Header=BB3_28 Depth=2
	v_mov_b32_e32 v18, 0xffffff80
.LBB3_27:                               ;   in Loop: Header=BB3_28 Depth=2
	v_lshl_add_u64 v[10:11], v[0:1], 1, v[6:7]
	v_lshl_add_u64 v[12:13], v[0:1], 3, v[8:9]
	v_add_nc_u32_e32 v0, s40, v0
	global_store_b16 v[10:11], v18, off
	global_store_b64 v[12:13], v[14:15], off
	v_cmp_le_i32_e32 vcc_lo, s9, v0
	s_or_b32 s49, vcc_lo, s49
	s_wait_xcnt 0x0
	s_and_not1_b32 exec_lo, exec_lo, s49
	s_cbranch_execz .LBB3_11
.LBB3_28:                               ;   Parent Loop BB3_12 Depth=1
                                        ; =>  This Loop Header: Depth=2
                                        ;       Child Loop BB3_44 Depth 3
                                        ;         Child Loop BB3_47 Depth 4
                                        ;           Child Loop BB3_49 Depth 5
	s_mov_b32 s11, s15
                                        ; implicit-def: $vgpr10_vgpr11
	s_delay_alu instid0(SALU_CYCLE_1) | instskip(SKIP_1) | instid1(SALU_CYCLE_1)
	s_cmp_lg_u64 s[10:11], 0
	s_cselect_b32 s2, -1, 0
	s_and_saveexec_b32 s3, s2
	s_delay_alu instid0(SALU_CYCLE_1)
	s_xor_b32 s3, exec_lo, s3
	s_cbranch_execz .LBB3_30
; %bb.29:                               ;   in Loop: Header=BB3_28 Depth=2
	s_ashr_i32 s36, s15, 31
	s_mov_b32 s55, s10
	s_mov_b32 s37, s36
	s_mov_b32 s59, s10
	s_add_nc_u64 s[38:39], s[14:15], s[36:37]
	v_add_nc_u64_e32 v[10:11], 0, v[0:1]
	s_xor_b64 s[38:39], s[38:39], s[36:37]
	v_mov_b32_e32 v13, v1
	s_cvt_f32_u32 s2, s38
	s_cvt_f32_u32 s4, s39
	s_sub_nc_u64 s[52:53], 0, s[38:39]
	s_delay_alu instid0(VALU_DEP_2) | instskip(NEXT) | instid1(SALU_CYCLE_1)
	v_dual_mov_b32 v15, v1 :: v_dual_mov_b32 v14, v11
	s_fmamk_f32 s2, s4, 0x4f800000, s2
	v_dual_mov_b32 v12, v10 :: v_dual_mov_b32 v19, v1
	s_delay_alu instid0(SALU_CYCLE_2) | instskip(NEXT) | instid1(TRANS32_DEP_1)
	v_s_rcp_f32 s2, s2
	s_mul_f32 s2, s2, 0x5f7ffffc
	s_delay_alu instid0(SALU_CYCLE_3) | instskip(NEXT) | instid1(SALU_CYCLE_3)
	s_mul_f32 s4, s2, 0x2f800000
	s_trunc_f32 s4, s4
	s_delay_alu instid0(SALU_CYCLE_3) | instskip(SKIP_1) | instid1(SALU_CYCLE_2)
	s_fmamk_f32 s2, s4, 0xcf800000, s2
	s_cvt_u32_f32 s51, s4
	s_cvt_u32_f32 s50, s2
	s_delay_alu instid0(SALU_CYCLE_3) | instskip(NEXT) | instid1(SALU_CYCLE_1)
	s_mul_u64 s[56:57], s[52:53], s[50:51]
	s_mul_hi_u32 s61, s50, s57
	s_mul_i32 s60, s50, s57
	s_mul_hi_u32 s54, s50, s56
	s_mul_i32 s4, s51, s56
	s_add_nc_u64 s[54:55], s[54:55], s[60:61]
	s_mul_hi_u32 s2, s51, s56
	s_mul_hi_u32 s11, s51, s57
	s_add_co_u32 s4, s54, s4
	s_add_co_ci_u32 s58, s55, s2
	s_mul_i32 s56, s51, s57
	s_add_co_ci_u32 s57, s11, 0
	s_delay_alu instid0(SALU_CYCLE_1) | instskip(SKIP_3) | instid1(SALU_CYCLE_1)
	s_add_nc_u64 s[54:55], s[58:59], s[56:57]
	s_mov_b32 s57, s10
	s_add_co_u32 s50, s50, s54
	s_cselect_b32 s2, -1, 0
	s_cmp_lg_u32 s2, 0
	s_add_co_ci_u32 s51, s51, s55
	s_mov_b32 s55, s10
	s_mul_u64 s[52:53], s[52:53], s[50:51]
	s_delay_alu instid0(SALU_CYCLE_1)
	s_mul_hi_u32 s59, s50, s53
	s_mul_i32 s58, s50, s53
	s_mul_hi_u32 s56, s50, s52
	s_mul_i32 s4, s51, s52
	s_add_nc_u64 s[56:57], s[56:57], s[58:59]
	s_mul_hi_u32 s2, s51, s52
	s_mul_hi_u32 s11, s51, s53
	s_add_co_u32 s4, s56, s4
	s_add_co_ci_u32 s54, s57, s2
	s_mul_i32 s52, s51, s53
	s_add_co_ci_u32 s53, s11, 0
	s_delay_alu instid0(SALU_CYCLE_1) | instskip(NEXT) | instid1(SALU_CYCLE_1)
	s_add_nc_u64 s[52:53], s[54:55], s[52:53]
	s_add_co_u32 s2, s50, s52
	s_cselect_b32 s4, -1, 0
	v_nop
	v_mul_hi_u32 v18, v10, s2
	s_cmp_lg_u32 s4, 0
	s_add_co_ci_u32 s54, s51, s53
	s_and_b64 s[50:51], s[2:3], s[18:19]
	v_mul_u64_e32 v[12:13], s[54:55], v[12:13]
	v_mul_u64_e32 v[16:17], s[50:51], v[14:15]
	;; [unrolled: 1-line block ×3, first 2 shown]
	s_delay_alu instid0(VALU_DEP_3) | instskip(NEXT) | instid1(VALU_DEP_1)
	v_add_nc_u64_e32 v[12:13], v[18:19], v[12:13]
	v_add_co_u32 v12, vcc_lo, v12, v16
	s_delay_alu instid0(VALU_DEP_2) | instskip(NEXT) | instid1(VALU_DEP_4)
	v_add_co_ci_u32_e32 v18, vcc_lo, v13, v17, vcc_lo
	v_add_co_ci_u32_e32 v15, vcc_lo, 0, v15, vcc_lo
	s_delay_alu instid0(VALU_DEP_1) | instskip(NEXT) | instid1(VALU_DEP_1)
	v_add_nc_u64_e32 v[12:13], v[18:19], v[14:15]
	v_mul_u64_e32 v[14:15], s[38:39], v[12:13]
	s_delay_alu instid0(VALU_DEP_1) | instskip(NEXT) | instid1(VALU_DEP_2)
	v_sub_nc_u32_e32 v16, v11, v15
	v_sub_co_u32 v10, vcc_lo, v10, v14
	s_delay_alu instid0(VALU_DEP_1) | instskip(NEXT) | instid1(VALU_DEP_3)
	v_sub_co_ci_u32_e64 v15, null, v11, v15, vcc_lo
	v_subrev_co_ci_u32_e64 v14, null, s39, v16, vcc_lo
	s_delay_alu instid0(VALU_DEP_3) | instskip(SKIP_1) | instid1(VALU_DEP_3)
	v_sub_co_u32 v18, s2, v10, s38
	v_cmp_le_u32_e32 vcc_lo, s38, v10
	v_subrev_co_ci_u32_e64 v14, null, 0, v14, s2
	s_delay_alu instid0(VALU_DEP_3) | instskip(SKIP_2) | instid1(VALU_DEP_4)
	v_cmp_le_u32_e64 s2, s38, v18
	v_add_nc_u64_e32 v[16:17], 2, v[12:13]
	v_cndmask_b32_e64 v20, 0, -1, vcc_lo
	v_cmp_eq_u32_e32 vcc_lo, s39, v14
	v_add_nc_u64_e32 v[10:11], 1, v[12:13]
	v_cndmask_b32_e64 v18, 0, -1, s2
	v_cmp_le_u32_e64 s2, s39, v14
	s_delay_alu instid0(VALU_DEP_1) | instskip(SKIP_1) | instid1(VALU_DEP_2)
	v_cndmask_b32_e64 v19, 0, -1, s2
	v_cmp_eq_u32_e64 s2, s39, v15
	v_cndmask_b32_e32 v14, v19, v18, vcc_lo
	v_cmp_le_u32_e32 vcc_lo, s39, v15
	v_cndmask_b32_e64 v18, 0, -1, vcc_lo
	s_delay_alu instid0(VALU_DEP_3) | instskip(NEXT) | instid1(VALU_DEP_2)
	v_cmp_ne_u32_e32 vcc_lo, 0, v14
	v_dual_cndmask_b32 v14, v18, v20, s2 :: v_dual_cndmask_b32 v11, v11, v17, vcc_lo
	v_cndmask_b32_e32 v10, v10, v16, vcc_lo
	s_delay_alu instid0(VALU_DEP_2) | instskip(NEXT) | instid1(VALU_DEP_2)
	v_cmp_ne_u32_e32 vcc_lo, 0, v14
	v_dual_cndmask_b32 v13, v13, v11 :: v_dual_cndmask_b32 v12, v12, v10
	v_dual_mov_b32 v11, s36 :: v_dual_mov_b32 v10, s36
	s_delay_alu instid0(VALU_DEP_2) | instskip(NEXT) | instid1(VALU_DEP_3)
	v_xor_b32_e32 v13, s36, v13
	v_xor_b32_e32 v12, s36, v12
	s_delay_alu instid0(VALU_DEP_1)
	v_sub_nc_u64_e32 v[10:11], v[12:13], v[10:11]
.LBB3_30:                               ;   in Loop: Header=BB3_28 Depth=2
	s_and_not1_saveexec_b32 s2, s3
	s_cbranch_execz .LBB3_32
; %bb.31:                               ;   in Loop: Header=BB3_28 Depth=2
	v_cvt_f32_u32_e32 v10, s14
	s_sub_co_i32 s3, 0, s14
	s_delay_alu instid0(VALU_DEP_1) | instskip(SKIP_1) | instid1(TRANS32_DEP_1)
	v_rcp_iflag_f32_e32 v10, v10
	v_nop
	v_mul_f32_e32 v10, 0x4f7ffffe, v10
	s_delay_alu instid0(VALU_DEP_1) | instskip(NEXT) | instid1(VALU_DEP_1)
	v_cvt_u32_f32_e32 v10, v10
	v_mul_lo_u32 v11, s3, v10
	s_delay_alu instid0(VALU_DEP_1) | instskip(NEXT) | instid1(VALU_DEP_1)
	v_mul_hi_u32 v11, v10, v11
	v_add_nc_u32_e32 v10, v10, v11
	s_delay_alu instid0(VALU_DEP_1) | instskip(NEXT) | instid1(VALU_DEP_1)
	v_mul_hi_u32 v10, v0, v10
	v_mul_lo_u32 v11, v10, s14
	s_delay_alu instid0(VALU_DEP_1) | instskip(NEXT) | instid1(VALU_DEP_1)
	v_dual_add_nc_u32 v12, 1, v10 :: v_dual_sub_nc_u32 v11, v0, v11
	v_subrev_nc_u32_e32 v13, s14, v11
	v_cmp_le_u32_e32 vcc_lo, s14, v11
	s_delay_alu instid0(VALU_DEP_2) | instskip(NEXT) | instid1(VALU_DEP_1)
	v_dual_cndmask_b32 v11, v11, v13 :: v_dual_cndmask_b32 v10, v10, v12
	v_cmp_le_u32_e32 vcc_lo, s14, v11
	s_delay_alu instid0(VALU_DEP_2) | instskip(NEXT) | instid1(VALU_DEP_1)
	v_dual_mov_b32 v11, v1 :: v_dual_add_nc_u32 v12, 1, v10
	v_cndmask_b32_e32 v10, v10, v12, vcc_lo
.LBB3_32:                               ;   in Loop: Header=BB3_28 Depth=2
	s_or_b32 exec_lo, exec_lo, s2
	s_delay_alu instid0(VALU_DEP_1) | instskip(NEXT) | instid1(VALU_DEP_1)
	v_mul_u64_e32 v[12:13], s[14:15], v[10:11]
	v_sub_nc_u64_e32 v[12:13], v[0:1], v[12:13]
	s_delay_alu instid0(VALU_DEP_1) | instskip(NEXT) | instid1(VALU_DEP_1)
	v_mul_u64_e32 v[14:15], s[6:7], v[12:13]
	v_dual_mov_b32 v12, v1 :: v_dual_bitop2_b32 v13, s15, v15 bitop3:0x54
	s_delay_alu instid0(VALU_DEP_1) | instskip(SKIP_1) | instid1(SALU_CYCLE_1)
	v_cmp_ne_u64_e32 vcc_lo, 0, v[12:13]
                                        ; implicit-def: $vgpr12_vgpr13
	s_and_saveexec_b32 s2, vcc_lo
	s_xor_b32 s3, exec_lo, s2
	s_cbranch_execz .LBB3_34
; %bb.33:                               ;   in Loop: Header=BB3_28 Depth=2
	s_ashr_i32 s36, s15, 31
	s_mov_b32 s55, s10
	s_mov_b32 s37, s36
	;; [unrolled: 1-line block ×3, first 2 shown]
	s_add_nc_u64 s[38:39], s[14:15], s[36:37]
	v_dual_mov_b32 v17, v1 :: v_dual_ashrrev_i32 v12, 31, v15
	s_xor_b64 s[38:39], s[38:39], s[36:37]
	s_delay_alu instid0(SALU_CYCLE_1) | instskip(SKIP_3) | instid1(SALU_CYCLE_1)
	s_cvt_f32_u32 s2, s38
	s_cvt_f32_u32 s4, s39
	s_sub_nc_u64 s[52:53], 0, s[38:39]
	v_mov_b32_e32 v13, v12
	s_fmamk_f32 s2, s4, 0x4f800000, s2
	s_delay_alu instid0(VALU_DEP_1) | instskip(NEXT) | instid1(SALU_CYCLE_2)
	v_add_nc_u64_e32 v[14:15], v[14:15], v[12:13]
	v_s_rcp_f32 s2, s2
	s_delay_alu instid0(VALU_DEP_1) | instskip(NEXT) | instid1(VALU_DEP_2)
	v_dual_mov_b32 v21, v1 :: v_dual_bitop2_b32 v20, v15, v12 bitop3:0x14
	v_xor_b32_e32 v16, v14, v12
	s_delay_alu instid0(TRANS32_DEP_1) | instskip(SKIP_1) | instid1(SALU_CYCLE_2)
	s_mul_f32 s2, s2, 0x5f7ffffc
	v_dual_mov_b32 v31, v1 :: v_dual_bitop2_b32 v12, s36, v12 bitop3:0x14
	s_mul_f32 s4, s2, 0x2f800000
	s_delay_alu instid0(SALU_CYCLE_3) | instskip(NEXT) | instid1(SALU_CYCLE_3)
	s_trunc_f32 s4, s4
	s_fmamk_f32 s2, s4, 0xcf800000, s2
	s_cvt_u32_f32 s51, s4
	s_delay_alu instid0(SALU_CYCLE_2) | instskip(NEXT) | instid1(SALU_CYCLE_3)
	s_cvt_u32_f32 s50, s2
	s_mul_u64 s[56:57], s[52:53], s[50:51]
	s_delay_alu instid0(SALU_CYCLE_1)
	s_mul_hi_u32 s61, s50, s57
	s_mul_i32 s60, s50, s57
	s_mul_hi_u32 s54, s50, s56
	s_mul_i32 s4, s51, s56
	s_add_nc_u64 s[54:55], s[54:55], s[60:61]
	s_mul_hi_u32 s2, s51, s56
	s_mul_hi_u32 s11, s51, s57
	s_add_co_u32 s4, s54, s4
	s_add_co_ci_u32 s58, s55, s2
	s_mul_i32 s56, s51, s57
	s_add_co_ci_u32 s57, s11, 0
	s_delay_alu instid0(SALU_CYCLE_1) | instskip(SKIP_3) | instid1(SALU_CYCLE_1)
	s_add_nc_u64 s[54:55], s[58:59], s[56:57]
	s_mov_b32 s57, s10
	s_add_co_u32 s50, s50, s54
	s_cselect_b32 s2, -1, 0
	s_cmp_lg_u32 s2, 0
	s_add_co_ci_u32 s51, s51, s55
	s_mov_b32 s55, s10
	s_mul_u64 s[52:53], s[52:53], s[50:51]
	s_delay_alu instid0(SALU_CYCLE_1)
	s_mul_hi_u32 s59, s50, s53
	s_mul_i32 s58, s50, s53
	s_mul_hi_u32 s56, s50, s52
	s_mul_i32 s4, s51, s52
	s_add_nc_u64 s[56:57], s[56:57], s[58:59]
	s_mul_hi_u32 s2, s51, s52
	s_mul_hi_u32 s11, s51, s53
	s_add_co_u32 s4, s56, s4
	s_add_co_ci_u32 s54, s57, s2
	s_mul_i32 s52, s51, s53
	s_add_co_ci_u32 s53, s11, 0
	s_delay_alu instid0(SALU_CYCLE_1) | instskip(NEXT) | instid1(SALU_CYCLE_1)
	s_add_nc_u64 s[52:53], s[54:55], s[52:53]
	s_add_co_u32 s2, s50, s52
	s_cselect_b32 s4, -1, 0
	v_mul_hi_u32 v30, v16, s2
	s_cmp_lg_u32 s4, 0
	s_add_co_ci_u32 s54, s51, s53
	s_and_b64 s[50:51], s[2:3], s[18:19]
	v_mul_u64_e32 v[18:19], s[54:55], v[16:17]
	v_mul_u64_e32 v[14:15], s[50:51], v[20:21]
	;; [unrolled: 1-line block ×3, first 2 shown]
	s_delay_alu instid0(VALU_DEP_3) | instskip(NEXT) | instid1(VALU_DEP_1)
	v_add_nc_u64_e32 v[18:19], v[30:31], v[18:19]
	v_add_co_u32 v11, vcc_lo, v18, v14
	s_delay_alu instid0(VALU_DEP_2) | instskip(NEXT) | instid1(VALU_DEP_4)
	v_add_co_ci_u32_e32 v30, vcc_lo, v19, v15, vcc_lo
	v_add_co_ci_u32_e32 v29, vcc_lo, 0, v29, vcc_lo
	s_delay_alu instid0(VALU_DEP_1) | instskip(NEXT) | instid1(VALU_DEP_1)
	v_add_nc_u64_e32 v[14:15], v[30:31], v[28:29]
	v_mul_u64_e32 v[18:19], s[38:39], v[14:15]
	s_delay_alu instid0(VALU_DEP_1) | instskip(NEXT) | instid1(VALU_DEP_2)
	v_sub_nc_u32_e32 v11, v20, v19
	v_sub_co_u32 v13, vcc_lo, v16, v18
	s_delay_alu instid0(VALU_DEP_1) | instskip(NEXT) | instid1(VALU_DEP_3)
	v_sub_co_ci_u32_e64 v20, null, v20, v19, vcc_lo
	v_subrev_co_ci_u32_e64 v11, null, s39, v11, vcc_lo
	s_delay_alu instid0(VALU_DEP_3) | instskip(SKIP_1) | instid1(VALU_DEP_3)
	v_sub_co_u32 v16, s2, v13, s38
	v_add_nc_u64_e32 v[18:19], 1, v[14:15]
	v_subrev_co_ci_u32_e64 v11, null, 0, v11, s2
	s_delay_alu instid0(VALU_DEP_3) | instskip(SKIP_1) | instid1(VALU_DEP_3)
	v_cmp_le_u32_e32 vcc_lo, s38, v16
	v_cndmask_b32_e64 v16, 0, -1, vcc_lo
	v_cmp_le_u32_e32 vcc_lo, s39, v11
	v_cndmask_b32_e64 v17, 0, -1, vcc_lo
	;; [unrolled: 2-line block ×4, first 2 shown]
	v_cmp_eq_u32_e32 vcc_lo, s39, v11
	v_cndmask_b32_e32 v11, v17, v16, vcc_lo
	v_cmp_eq_u32_e32 vcc_lo, s39, v20
	v_add_nc_u64_e32 v[16:17], 2, v[14:15]
	v_cndmask_b32_e32 v13, v21, v13, vcc_lo
	s_delay_alu instid0(VALU_DEP_4) | instskip(NEXT) | instid1(VALU_DEP_2)
	v_cmp_ne_u32_e32 vcc_lo, 0, v11
	v_cmp_ne_u32_e64 s2, 0, v13
	s_delay_alu instid0(VALU_DEP_4) | instskip(NEXT) | instid1(VALU_DEP_1)
	v_dual_cndmask_b32 v11, v19, v17, vcc_lo :: v_dual_cndmask_b32 v13, v18, v16, vcc_lo
	v_dual_cndmask_b32 v14, v14, v13, s2 :: v_dual_mov_b32 v13, v12
	s_delay_alu instid0(VALU_DEP_1) | instskip(NEXT) | instid1(VALU_DEP_1)
	v_dual_cndmask_b32 v11, v15, v11, s2 :: v_dual_bitop2_b32 v14, v14, v12 bitop3:0x14
	v_xor_b32_e32 v15, v11, v12
	s_delay_alu instid0(VALU_DEP_1)
	v_sub_nc_u64_e32 v[12:13], v[14:15], v[12:13]
                                        ; implicit-def: $vgpr14_vgpr15
.LBB3_34:                               ;   in Loop: Header=BB3_28 Depth=2
	s_and_not1_saveexec_b32 s2, s3
	s_cbranch_execz .LBB3_36
; %bb.35:                               ;   in Loop: Header=BB3_28 Depth=2
	v_cvt_f32_u32_e32 v11, s14
	s_sub_co_i32 s3, 0, s14
	s_delay_alu instid0(VALU_DEP_1) | instskip(SKIP_1) | instid1(TRANS32_DEP_1)
	v_rcp_iflag_f32_e32 v11, v11
	v_nop
	v_mul_f32_e32 v11, 0x4f7ffffe, v11
	s_delay_alu instid0(VALU_DEP_1) | instskip(NEXT) | instid1(VALU_DEP_1)
	v_cvt_u32_f32_e32 v11, v11
	v_mul_lo_u32 v12, s3, v11
	s_delay_alu instid0(VALU_DEP_1) | instskip(NEXT) | instid1(VALU_DEP_1)
	v_mul_hi_u32 v12, v11, v12
	v_add_nc_u32_e32 v11, v11, v12
	s_delay_alu instid0(VALU_DEP_1) | instskip(NEXT) | instid1(VALU_DEP_1)
	v_mul_hi_u32 v11, v14, v11
	v_mul_lo_u32 v12, v11, s14
	s_delay_alu instid0(VALU_DEP_1) | instskip(NEXT) | instid1(VALU_DEP_1)
	v_dual_add_nc_u32 v13, 1, v11 :: v_dual_sub_nc_u32 v12, v14, v12
	v_subrev_nc_u32_e32 v14, s14, v12
	v_cmp_le_u32_e32 vcc_lo, s14, v12
	s_delay_alu instid0(VALU_DEP_2) | instskip(NEXT) | instid1(VALU_DEP_1)
	v_dual_cndmask_b32 v12, v12, v14 :: v_dual_cndmask_b32 v11, v11, v13
	v_cmp_le_u32_e32 vcc_lo, s14, v12
	s_delay_alu instid0(VALU_DEP_2) | instskip(NEXT) | instid1(VALU_DEP_1)
	v_add_nc_u32_e32 v13, 1, v11
	v_dual_cndmask_b32 v12, v11, v13 :: v_dual_mov_b32 v13, v1
.LBB3_36:                               ;   in Loop: Header=BB3_28 Depth=2
	s_or_b32 exec_lo, exec_lo, s2
	v_dual_mov_b32 v16, v1 :: v_dual_add_nc_u32 v11, 1, v0
                                        ; implicit-def: $vgpr18_vgpr19
	s_mov_b32 s2, exec_lo
	s_delay_alu instid0(VALU_DEP_1) | instskip(NEXT) | instid1(VALU_DEP_1)
	v_mad_nc_u64_u32 v[14:15], v11, s6, -1
	v_mad_u32 v15, v11, s7, v15
	s_delay_alu instid0(VALU_DEP_1) | instskip(NEXT) | instid1(VALU_DEP_1)
	v_or_b32_e32 v17, s15, v15
	v_cmpx_ne_u64_e32 0, v[16:17]
	s_xor_b32 s3, exec_lo, s2
	s_cbranch_execz .LBB3_38
; %bb.37:                               ;   in Loop: Header=BB3_28 Depth=2
	s_ashr_i32 s36, s15, 31
	s_mov_b32 s55, s10
	s_mov_b32 s37, s36
	;; [unrolled: 1-line block ×3, first 2 shown]
	s_add_nc_u64 s[38:39], s[14:15], s[36:37]
	v_dual_mov_b32 v19, v1 :: v_dual_ashrrev_i32 v16, 31, v15
	s_xor_b64 s[38:39], s[38:39], s[36:37]
	s_delay_alu instid0(SALU_CYCLE_1) | instskip(SKIP_3) | instid1(SALU_CYCLE_1)
	s_cvt_f32_u32 s2, s38
	s_cvt_f32_u32 s4, s39
	s_sub_nc_u64 s[52:53], 0, s[38:39]
	v_mov_b32_e32 v17, v16
	s_fmamk_f32 s2, s4, 0x4f800000, s2
	s_delay_alu instid0(VALU_DEP_1) | instskip(NEXT) | instid1(SALU_CYCLE_2)
	v_add_nc_u64_e32 v[14:15], v[14:15], v[16:17]
	v_s_rcp_f32 s2, s2
	s_delay_alu instid0(VALU_DEP_1) | instskip(NEXT) | instid1(VALU_DEP_2)
	v_dual_mov_b32 v29, v1 :: v_dual_bitop2_b32 v28, v15, v16 bitop3:0x14
	v_xor_b32_e32 v18, v14, v16
	s_delay_alu instid0(TRANS32_DEP_1) | instskip(SKIP_1) | instid1(SALU_CYCLE_2)
	s_mul_f32 s2, s2, 0x5f7ffffc
	v_mov_b32_e32 v33, v1
	s_mul_f32 s4, s2, 0x2f800000
	s_delay_alu instid0(SALU_CYCLE_3) | instskip(NEXT) | instid1(SALU_CYCLE_3)
	s_trunc_f32 s4, s4
	s_fmamk_f32 s2, s4, 0xcf800000, s2
	s_cvt_u32_f32 s51, s4
	s_delay_alu instid0(SALU_CYCLE_2) | instskip(NEXT) | instid1(SALU_CYCLE_3)
	s_cvt_u32_f32 s50, s2
	s_mul_u64 s[56:57], s[52:53], s[50:51]
	s_delay_alu instid0(SALU_CYCLE_1)
	s_mul_hi_u32 s61, s50, s57
	s_mul_i32 s60, s50, s57
	s_mul_hi_u32 s54, s50, s56
	s_mul_i32 s4, s51, s56
	s_add_nc_u64 s[54:55], s[54:55], s[60:61]
	s_mul_hi_u32 s2, s51, s56
	s_mul_hi_u32 s11, s51, s57
	s_add_co_u32 s4, s54, s4
	s_add_co_ci_u32 s58, s55, s2
	s_mul_i32 s56, s51, s57
	s_add_co_ci_u32 s57, s11, 0
	s_delay_alu instid0(SALU_CYCLE_1) | instskip(SKIP_3) | instid1(SALU_CYCLE_1)
	s_add_nc_u64 s[54:55], s[58:59], s[56:57]
	s_mov_b32 s57, s10
	s_add_co_u32 s50, s50, s54
	s_cselect_b32 s2, -1, 0
	s_cmp_lg_u32 s2, 0
	s_add_co_ci_u32 s51, s51, s55
	s_mov_b32 s55, s10
	s_mul_u64 s[52:53], s[52:53], s[50:51]
	s_delay_alu instid0(SALU_CYCLE_1)
	s_mul_hi_u32 s59, s50, s53
	s_mul_i32 s58, s50, s53
	s_mul_hi_u32 s56, s50, s52
	s_mul_i32 s4, s51, s52
	s_add_nc_u64 s[56:57], s[56:57], s[58:59]
	s_mul_hi_u32 s2, s51, s52
	s_mul_hi_u32 s11, s51, s53
	s_add_co_u32 s4, s56, s4
	s_add_co_ci_u32 s54, s57, s2
	s_mul_i32 s52, s51, s53
	s_add_co_ci_u32 s53, s11, 0
	s_delay_alu instid0(SALU_CYCLE_1) | instskip(NEXT) | instid1(SALU_CYCLE_1)
	s_add_nc_u64 s[52:53], s[54:55], s[52:53]
	s_add_co_u32 s2, s50, s52
	s_cselect_b32 s4, -1, 0
	v_mul_hi_u32 v32, v18, s2
	s_cmp_lg_u32 s4, 0
	s_add_co_ci_u32 s54, s51, s53
	s_and_b64 s[50:51], s[2:3], s[18:19]
	v_mul_u64_e32 v[20:21], s[54:55], v[18:19]
	v_mul_u64_e32 v[14:15], s[50:51], v[28:29]
	;; [unrolled: 1-line block ×3, first 2 shown]
	s_delay_alu instid0(VALU_DEP_3) | instskip(NEXT) | instid1(VALU_DEP_1)
	v_add_nc_u64_e32 v[20:21], v[32:33], v[20:21]
	v_add_co_u32 v11, vcc_lo, v20, v14
	s_delay_alu instid0(VALU_DEP_2) | instskip(NEXT) | instid1(VALU_DEP_4)
	v_add_co_ci_u32_e32 v32, vcc_lo, v21, v15, vcc_lo
	v_add_co_ci_u32_e32 v31, vcc_lo, 0, v31, vcc_lo
	s_delay_alu instid0(VALU_DEP_1) | instskip(NEXT) | instid1(VALU_DEP_1)
	v_add_nc_u64_e32 v[14:15], v[32:33], v[30:31]
	v_mul_u64_e32 v[20:21], s[38:39], v[14:15]
	s_delay_alu instid0(VALU_DEP_1) | instskip(NEXT) | instid1(VALU_DEP_2)
	v_sub_nc_u32_e32 v11, v28, v21
	v_sub_co_u32 v17, vcc_lo, v18, v20
	s_delay_alu instid0(VALU_DEP_1) | instskip(NEXT) | instid1(VALU_DEP_3)
	v_sub_co_ci_u32_e64 v27, null, v28, v21, vcc_lo
	v_subrev_co_ci_u32_e64 v11, null, s39, v11, vcc_lo
	s_delay_alu instid0(VALU_DEP_3) | instskip(SKIP_1) | instid1(VALU_DEP_3)
	v_sub_co_u32 v18, s2, v17, s38
	v_add_nc_u64_e32 v[20:21], 1, v[14:15]
	v_subrev_co_ci_u32_e64 v11, null, 0, v11, s2
	s_delay_alu instid0(VALU_DEP_3) | instskip(SKIP_1) | instid1(VALU_DEP_3)
	v_cmp_le_u32_e32 vcc_lo, s38, v18
	v_cndmask_b32_e64 v18, 0, -1, vcc_lo
	v_cmp_le_u32_e32 vcc_lo, s39, v11
	v_cndmask_b32_e64 v19, 0, -1, vcc_lo
	;; [unrolled: 2-line block ×4, first 2 shown]
	v_cmp_eq_u32_e32 vcc_lo, s39, v11
	v_cndmask_b32_e32 v11, v19, v18, vcc_lo
	v_cmp_eq_u32_e32 vcc_lo, s39, v27
	v_add_nc_u64_e32 v[18:19], 2, v[14:15]
	v_cndmask_b32_e32 v17, v28, v17, vcc_lo
	s_delay_alu instid0(VALU_DEP_4) | instskip(NEXT) | instid1(VALU_DEP_2)
	v_cmp_ne_u32_e32 vcc_lo, 0, v11
	v_cmp_ne_u32_e64 s2, 0, v17
	s_delay_alu instid0(VALU_DEP_4) | instskip(NEXT) | instid1(VALU_DEP_1)
	v_dual_cndmask_b32 v11, v21, v19, vcc_lo :: v_dual_cndmask_b32 v17, v20, v18, vcc_lo
	v_dual_cndmask_b32 v11, v15, v11, s2 :: v_dual_bitop2_b32 v16, s36, v16 bitop3:0x14
	s_delay_alu instid0(VALU_DEP_1) | instskip(NEXT) | instid1(VALU_DEP_2)
	v_dual_cndmask_b32 v14, v14, v17, s2 :: v_dual_mov_b32 v17, v16
	v_xor_b32_e32 v15, v11, v16
	s_delay_alu instid0(VALU_DEP_2) | instskip(NEXT) | instid1(VALU_DEP_1)
	v_xor_b32_e32 v14, v14, v16
	v_sub_nc_u64_e32 v[18:19], v[14:15], v[16:17]
                                        ; implicit-def: $vgpr14_vgpr15
.LBB3_38:                               ;   in Loop: Header=BB3_28 Depth=2
	s_and_not1_saveexec_b32 s2, s3
	s_cbranch_execz .LBB3_40
; %bb.39:                               ;   in Loop: Header=BB3_28 Depth=2
	v_cvt_f32_u32_e32 v11, s14
	s_sub_co_i32 s3, 0, s14
	s_delay_alu instid0(VALU_DEP_1) | instskip(SKIP_1) | instid1(TRANS32_DEP_1)
	v_rcp_iflag_f32_e32 v11, v11
	v_nop
	v_mul_f32_e32 v11, 0x4f7ffffe, v11
	s_delay_alu instid0(VALU_DEP_1) | instskip(NEXT) | instid1(VALU_DEP_1)
	v_cvt_u32_f32_e32 v11, v11
	v_mul_lo_u32 v15, s3, v11
	s_delay_alu instid0(VALU_DEP_1) | instskip(NEXT) | instid1(VALU_DEP_1)
	v_mul_hi_u32 v15, v11, v15
	v_add_nc_u32_e32 v11, v11, v15
	s_delay_alu instid0(VALU_DEP_1) | instskip(NEXT) | instid1(VALU_DEP_1)
	v_mul_hi_u32 v11, v14, v11
	v_mul_lo_u32 v15, v11, s14
	s_delay_alu instid0(VALU_DEP_1) | instskip(SKIP_1) | instid1(VALU_DEP_2)
	v_sub_nc_u32_e32 v14, v14, v15
	v_add_nc_u32_e32 v15, 1, v11
	v_subrev_nc_u32_e32 v16, s14, v14
	v_cmp_le_u32_e32 vcc_lo, s14, v14
	s_delay_alu instid0(VALU_DEP_2) | instskip(NEXT) | instid1(VALU_DEP_1)
	v_dual_cndmask_b32 v14, v14, v16 :: v_dual_cndmask_b32 v11, v11, v15
	v_cmp_le_u32_e32 vcc_lo, s14, v14
	s_delay_alu instid0(VALU_DEP_2) | instskip(NEXT) | instid1(VALU_DEP_1)
	v_add_nc_u32_e32 v15, 1, v11
	v_cndmask_b32_e32 v18, v11, v15, vcc_lo
.LBB3_40:                               ;   in Loop: Header=BB3_28 Depth=2
	s_or_b32 exec_lo, exec_lo, s2
	v_mad_nc_u64_u32 v[20:21], v10, s6, v[12:13]
	s_and_not1_b32 vcc_lo, exec_lo, s41
	s_delay_alu instid0(VALU_DEP_1) | instskip(NEXT) | instid1(VALU_DEP_1)
	v_add_nc_u32_e32 v14, v25, v20
	v_ashrrev_i32_e32 v15, 31, v14
	s_cbranch_vccnz .LBB3_26
; %bb.41:                               ;   in Loop: Header=BB3_28 Depth=2
	v_mad_nc_u64_u32 v[16:17], s26, v20, v[4:5]
	v_dual_mov_b32 v18, 0xffffff80 :: v_dual_sub_nc_u32 v13, v18, v20
	s_mov_b32 s11, 0
	s_delay_alu instid0(VALU_DEP_2) | instskip(SKIP_1) | instid1(VALU_DEP_3)
	v_mad_u32 v11, s27, v20, v17
	v_dual_ashrrev_i32 v17, 31, v20 :: v_dual_add_nc_u32 v10, v26, v10
	v_add_nc_u32_e32 v19, 1, v13
	s_delay_alu instid0(VALU_DEP_2) | instskip(NEXT) | instid1(VALU_DEP_2)
	v_mad_u32 v20, s6, v10, v12
	v_cmp_lt_i32_e32 vcc_lo, 0, v19
	s_delay_alu instid0(VALU_DEP_4)
	v_mad_u32 v17, s26, v17, v11
	s_branch .LBB3_44
.LBB3_42:                               ;   in Loop: Header=BB3_44 Depth=3
	s_or_b32 exec_lo, exec_lo, s37
.LBB3_43:                               ;   in Loop: Header=BB3_44 Depth=3
	s_delay_alu instid0(SALU_CYCLE_1) | instskip(NEXT) | instid1(VALU_DEP_1)
	s_or_b32 exec_lo, exec_lo, s36
	v_add_nc_u64_e32 v[16:17], s[28:29], v[16:17]
	s_delay_alu instid0(VALU_DEP_2) | instskip(SKIP_1) | instid1(SALU_CYCLE_1)
	v_add_nc_u32_e32 v20, s47, v20
	s_add_co_i32 s11, s11, 1
	s_cmp_lt_i32 s11, s33
	s_cbranch_scc0 .LBB3_27
.LBB3_44:                               ;   Parent Loop BB3_12 Depth=1
                                        ;     Parent Loop BB3_28 Depth=2
                                        ; =>    This Loop Header: Depth=3
                                        ;         Child Loop BB3_47 Depth 4
                                        ;           Child Loop BB3_49 Depth 5
	s_and_saveexec_b32 s36, s1
	s_cbranch_execz .LBB3_43
; %bb.45:                               ;   in Loop: Header=BB3_44 Depth=3
	s_delay_alu instid0(VALU_DEP_1) | instskip(NEXT) | instid1(VALU_DEP_2)
	v_mov_b64_e32 v[10:11], v[16:17]
	v_mov_b32_e32 v21, v20
	s_mov_b32 s37, 0
	s_mov_b32 s38, 0
	s_branch .LBB3_47
.LBB3_46:                               ;   in Loop: Header=BB3_47 Depth=4
	s_or_b32 exec_lo, exec_lo, s39
	s_add_co_i32 s38, s38, 1
	v_add_nc_u64_e32 v[10:11], s[24:25], v[10:11]
	v_cmp_ge_i32_e64 s2, s38, v3
	v_add_nc_u32_e32 v21, s6, v21
	s_or_b32 s37, s2, s37
	s_delay_alu instid0(SALU_CYCLE_1)
	s_and_not1_b32 exec_lo, exec_lo, s37
	s_cbranch_execz .LBB3_42
.LBB3_47:                               ;   Parent Loop BB3_12 Depth=1
                                        ;     Parent Loop BB3_28 Depth=2
                                        ;       Parent Loop BB3_44 Depth=3
                                        ; =>      This Loop Header: Depth=4
                                        ;           Child Loop BB3_49 Depth 5
	s_and_saveexec_b32 s39, vcc_lo
	s_cbranch_execz .LBB3_46
; %bb.48:                               ;   in Loop: Header=BB3_47 Depth=4
	v_mov_b64_e32 v[12:13], v[10:11]
	s_mov_b32 s50, 0
	s_mov_b32 s51, 0
.LBB3_49:                               ;   Parent Loop BB3_12 Depth=1
                                        ;     Parent Loop BB3_28 Depth=2
                                        ;       Parent Loop BB3_44 Depth=3
                                        ;         Parent Loop BB3_47 Depth=4
                                        ; =>        This Inner Loop Header: Depth=5
	global_load_u16 v27, v[12:13], off
	v_dual_lshlrev_b32 v28, 16, v18 :: v_dual_add_nc_u32 v29, s51, v21
	s_add_co_i32 s51, s51, 1
	s_wait_xcnt 0x0
	v_add_nc_u64_e32 v[12:13], s[26:27], v[12:13]
	v_cmp_ge_i32_e64 s4, s51, v19
	s_wait_loadcnt 0x0
	v_lshlrev_b32_e32 v30, 16, v27
	s_delay_alu instid0(VALU_DEP_1)
	v_cmp_gt_f32_e64 s2, v30, v28
	v_ashrrev_i32_e32 v28, 31, v29
	v_cmp_u_f32_e64 s3, v30, v30
	s_or_b32 s2, s2, s3
	s_or_b32 s50, s4, s50
	v_dual_cndmask_b32 v18, v18, v27, s2 :: v_dual_cndmask_b32 v15, v15, v28, s2
	v_cndmask_b32_e64 v14, v14, v29, s2
	s_and_not1_b32 exec_lo, exec_lo, s50
	s_cbranch_execnz .LBB3_49
; %bb.50:                               ;   in Loop: Header=BB3_47 Depth=4
	s_or_b32 exec_lo, exec_lo, s50
	s_branch .LBB3_46
.LBB3_51:
	s_endpgm
.LBB3_52:
                                        ; implicit-def: $sgpr16_sgpr17
	s_branch .LBB3_2
.LBB3_53:
                                        ; implicit-def: $sgpr20_sgpr21
	s_branch .LBB3_5
.LBB3_54:
                                        ; implicit-def: $sgpr22_sgpr23
	s_load_b32 s7, s[0:1], 0x64
	s_branch .LBB3_8
	.section	.rodata,"a",@progbits
	.p2align	6, 0x0
	.amdhsa_kernel _ZN2at6native12_GLOBAL__N_115adaptivemaxpoolIN3c108BFloat16EEEvPKT_PS5_Pliiiiiilllll
		.amdhsa_group_segment_fixed_size 0
		.amdhsa_private_segment_fixed_size 0
		.amdhsa_kernarg_size 344
		.amdhsa_user_sgpr_count 2
		.amdhsa_user_sgpr_dispatch_ptr 0
		.amdhsa_user_sgpr_queue_ptr 0
		.amdhsa_user_sgpr_kernarg_segment_ptr 1
		.amdhsa_user_sgpr_dispatch_id 0
		.amdhsa_user_sgpr_kernarg_preload_length 0
		.amdhsa_user_sgpr_kernarg_preload_offset 0
		.amdhsa_user_sgpr_private_segment_size 0
		.amdhsa_wavefront_size32 1
		.amdhsa_uses_dynamic_stack 0
		.amdhsa_enable_private_segment 0
		.amdhsa_system_sgpr_workgroup_id_x 1
		.amdhsa_system_sgpr_workgroup_id_y 1
		.amdhsa_system_sgpr_workgroup_id_z 0
		.amdhsa_system_sgpr_workgroup_info 0
		.amdhsa_system_vgpr_workitem_id 1
		.amdhsa_next_free_vgpr 34
		.amdhsa_next_free_sgpr 62
		.amdhsa_named_barrier_count 0
		.amdhsa_reserve_vcc 1
		.amdhsa_float_round_mode_32 0
		.amdhsa_float_round_mode_16_64 0
		.amdhsa_float_denorm_mode_32 3
		.amdhsa_float_denorm_mode_16_64 3
		.amdhsa_fp16_overflow 0
		.amdhsa_memory_ordered 1
		.amdhsa_forward_progress 1
		.amdhsa_inst_pref_size 58
		.amdhsa_round_robin_scheduling 0
		.amdhsa_exception_fp_ieee_invalid_op 0
		.amdhsa_exception_fp_denorm_src 0
		.amdhsa_exception_fp_ieee_div_zero 0
		.amdhsa_exception_fp_ieee_overflow 0
		.amdhsa_exception_fp_ieee_underflow 0
		.amdhsa_exception_fp_ieee_inexact 0
		.amdhsa_exception_int_div_zero 0
	.end_amdhsa_kernel
	.section	.text._ZN2at6native12_GLOBAL__N_115adaptivemaxpoolIN3c108BFloat16EEEvPKT_PS5_Pliiiiiilllll,"axG",@progbits,_ZN2at6native12_GLOBAL__N_115adaptivemaxpoolIN3c108BFloat16EEEvPKT_PS5_Pliiiiiilllll,comdat
.Lfunc_end3:
	.size	_ZN2at6native12_GLOBAL__N_115adaptivemaxpoolIN3c108BFloat16EEEvPKT_PS5_Pliiiiiilllll, .Lfunc_end3-_ZN2at6native12_GLOBAL__N_115adaptivemaxpoolIN3c108BFloat16EEEvPKT_PS5_Pliiiiiilllll
                                        ; -- End function
	.set _ZN2at6native12_GLOBAL__N_115adaptivemaxpoolIN3c108BFloat16EEEvPKT_PS5_Pliiiiiilllll.num_vgpr, 34
	.set _ZN2at6native12_GLOBAL__N_115adaptivemaxpoolIN3c108BFloat16EEEvPKT_PS5_Pliiiiiilllll.num_agpr, 0
	.set _ZN2at6native12_GLOBAL__N_115adaptivemaxpoolIN3c108BFloat16EEEvPKT_PS5_Pliiiiiilllll.numbered_sgpr, 62
	.set _ZN2at6native12_GLOBAL__N_115adaptivemaxpoolIN3c108BFloat16EEEvPKT_PS5_Pliiiiiilllll.num_named_barrier, 0
	.set _ZN2at6native12_GLOBAL__N_115adaptivemaxpoolIN3c108BFloat16EEEvPKT_PS5_Pliiiiiilllll.private_seg_size, 0
	.set _ZN2at6native12_GLOBAL__N_115adaptivemaxpoolIN3c108BFloat16EEEvPKT_PS5_Pliiiiiilllll.uses_vcc, 1
	.set _ZN2at6native12_GLOBAL__N_115adaptivemaxpoolIN3c108BFloat16EEEvPKT_PS5_Pliiiiiilllll.uses_flat_scratch, 0
	.set _ZN2at6native12_GLOBAL__N_115adaptivemaxpoolIN3c108BFloat16EEEvPKT_PS5_Pliiiiiilllll.has_dyn_sized_stack, 0
	.set _ZN2at6native12_GLOBAL__N_115adaptivemaxpoolIN3c108BFloat16EEEvPKT_PS5_Pliiiiiilllll.has_recursion, 0
	.set _ZN2at6native12_GLOBAL__N_115adaptivemaxpoolIN3c108BFloat16EEEvPKT_PS5_Pliiiiiilllll.has_indirect_call, 0
	.section	.AMDGPU.csdata,"",@progbits
; Kernel info:
; codeLenInByte = 7336
; TotalNumSgprs: 64
; NumVgprs: 34
; ScratchSize: 0
; MemoryBound: 0
; FloatMode: 240
; IeeeMode: 1
; LDSByteSize: 0 bytes/workgroup (compile time only)
; SGPRBlocks: 0
; VGPRBlocks: 2
; NumSGPRsForWavesPerEU: 64
; NumVGPRsForWavesPerEU: 34
; NamedBarCnt: 0
; Occupancy: 16
; WaveLimiterHint : 0
; COMPUTE_PGM_RSRC2:SCRATCH_EN: 0
; COMPUTE_PGM_RSRC2:USER_SGPR: 2
; COMPUTE_PGM_RSRC2:TRAP_HANDLER: 0
; COMPUTE_PGM_RSRC2:TGID_X_EN: 1
; COMPUTE_PGM_RSRC2:TGID_Y_EN: 1
; COMPUTE_PGM_RSRC2:TGID_Z_EN: 0
; COMPUTE_PGM_RSRC2:TIDIG_COMP_CNT: 1
	.section	.text._ZN2at6native12_GLOBAL__N_126atomicadaptivemaxgradinputIdEEvPT_PKS3_PKliiiiiil,"axG",@progbits,_ZN2at6native12_GLOBAL__N_126atomicadaptivemaxgradinputIdEEvPT_PKS3_PKliiiiiil,comdat
	.globl	_ZN2at6native12_GLOBAL__N_126atomicadaptivemaxgradinputIdEEvPT_PKS3_PKliiiiiil ; -- Begin function _ZN2at6native12_GLOBAL__N_126atomicadaptivemaxgradinputIdEEvPT_PKS3_PKliiiiiil
	.p2align	8
	.type	_ZN2at6native12_GLOBAL__N_126atomicadaptivemaxgradinputIdEEvPT_PKS3_PKliiiiiil,@function
_ZN2at6native12_GLOBAL__N_126atomicadaptivemaxgradinputIdEEvPT_PKS3_PKliiiiiil: ; @_ZN2at6native12_GLOBAL__N_126atomicadaptivemaxgradinputIdEEvPT_PKS3_PKliiiiiil
; %bb.0:
	s_load_b256 s[4:11], s[0:1], 0x18
	s_bfe_u32 s2, ttmp6, 0x4000c
	s_and_b32 s3, ttmp6, 15
	s_add_co_i32 s2, s2, 1
	s_getreg_b32 s18, hwreg(HW_REG_IB_STS2, 6, 4)
	s_mul_i32 s2, ttmp9, s2
	s_mov_b32 s13, 0
	s_add_co_i32 s3, s3, s2
	s_cmp_eq_u32 s18, 0
	s_cselect_b32 s12, ttmp9, s3
	s_wait_kmcnt 0x0
	s_add_nc_u64 s[2:3], s[10:11], s[12:13]
	s_ashr_i32 s11, s7, 31
	s_mov_b32 s10, s7
	s_delay_alu instid0(SALU_CYCLE_1) | instskip(NEXT) | instid1(SALU_CYCLE_1)
	s_or_b64 s[14:15], s[2:3], s[10:11]
	s_and_b64 s[14:15], s[14:15], 0xffffffff00000000
	s_delay_alu instid0(SALU_CYCLE_1)
	s_cmp_lg_u64 s[14:15], 0
	s_cbranch_scc0 .LBB4_10
; %bb.1:
	s_ashr_i32 s14, s11, 31
	s_delay_alu instid0(SALU_CYCLE_1) | instskip(NEXT) | instid1(SALU_CYCLE_1)
	s_mov_b32 s15, s14
	s_add_nc_u64 s[16:17], s[10:11], s[14:15]
	s_delay_alu instid0(SALU_CYCLE_1) | instskip(NEXT) | instid1(SALU_CYCLE_1)
	s_xor_b64 s[16:17], s[16:17], s[14:15]
	s_cvt_f32_u32 s7, s16
	s_cvt_f32_u32 s11, s17
	s_sub_nc_u64 s[22:23], 0, s[16:17]
	s_delay_alu instid0(SALU_CYCLE_2) | instskip(NEXT) | instid1(SALU_CYCLE_3)
	s_fmamk_f32 s7, s11, 0x4f800000, s7
	v_s_rcp_f32 s7, s7
	s_delay_alu instid0(TRANS32_DEP_1) | instskip(NEXT) | instid1(SALU_CYCLE_3)
	s_mul_f32 s7, s7, 0x5f7ffffc
	s_mul_f32 s11, s7, 0x2f800000
	s_delay_alu instid0(SALU_CYCLE_3) | instskip(NEXT) | instid1(SALU_CYCLE_3)
	s_trunc_f32 s11, s11
	s_fmamk_f32 s7, s11, 0xcf800000, s7
	s_cvt_u32_f32 s21, s11
	s_delay_alu instid0(SALU_CYCLE_2) | instskip(NEXT) | instid1(SALU_CYCLE_3)
	s_cvt_u32_f32 s20, s7
	s_mul_u64 s[24:25], s[22:23], s[20:21]
	s_delay_alu instid0(SALU_CYCLE_1)
	s_mul_hi_u32 s27, s20, s25
	s_mul_i32 s26, s20, s25
	s_mul_hi_u32 s12, s20, s24
	s_mul_i32 s11, s21, s24
	s_add_nc_u64 s[26:27], s[12:13], s[26:27]
	s_mul_hi_u32 s7, s21, s24
	s_mul_hi_u32 s19, s21, s25
	s_add_co_u32 s11, s26, s11
	s_add_co_ci_u32 s12, s27, s7
	s_mul_i32 s24, s21, s25
	s_add_co_ci_u32 s25, s19, 0
	s_delay_alu instid0(SALU_CYCLE_1) | instskip(NEXT) | instid1(SALU_CYCLE_1)
	s_add_nc_u64 s[24:25], s[12:13], s[24:25]
	s_add_co_u32 s20, s20, s24
	s_cselect_b32 s7, -1, 0
	s_delay_alu instid0(SALU_CYCLE_1) | instskip(SKIP_1) | instid1(SALU_CYCLE_1)
	s_cmp_lg_u32 s7, 0
	s_add_co_ci_u32 s21, s21, s25
	s_mul_u64 s[22:23], s[22:23], s[20:21]
	s_delay_alu instid0(SALU_CYCLE_1)
	s_mul_hi_u32 s25, s20, s23
	s_mul_i32 s24, s20, s23
	s_mul_hi_u32 s12, s20, s22
	s_mul_i32 s11, s21, s22
	s_add_nc_u64 s[24:25], s[12:13], s[24:25]
	s_mul_hi_u32 s7, s21, s22
	s_mul_hi_u32 s19, s21, s23
	s_add_co_u32 s11, s24, s11
	s_add_co_ci_u32 s12, s25, s7
	s_mul_i32 s22, s21, s23
	s_add_co_ci_u32 s23, s19, 0
	s_delay_alu instid0(SALU_CYCLE_1) | instskip(NEXT) | instid1(SALU_CYCLE_1)
	s_add_nc_u64 s[22:23], s[12:13], s[22:23]
	s_add_co_u32 s7, s20, s22
	s_cselect_b32 s11, -1, 0
	s_delay_alu instid0(SALU_CYCLE_1) | instskip(SKIP_2) | instid1(SALU_CYCLE_1)
	s_cmp_lg_u32 s11, 0
	s_add_co_ci_u32 s11, s21, s23
	s_ashr_i32 s20, s3, 31
	s_mov_b32 s21, s20
	s_delay_alu instid0(SALU_CYCLE_1) | instskip(NEXT) | instid1(SALU_CYCLE_1)
	s_add_nc_u64 s[22:23], s[2:3], s[20:21]
	s_xor_b64 s[22:23], s[22:23], s[20:21]
	s_delay_alu instid0(SALU_CYCLE_1)
	s_mul_hi_u32 s25, s22, s11
	s_mul_i32 s24, s22, s11
	s_mul_hi_u32 s12, s22, s7
	s_mul_hi_u32 s27, s23, s7
	s_mul_i32 s7, s23, s7
	s_add_nc_u64 s[24:25], s[12:13], s[24:25]
	s_mul_hi_u32 s19, s23, s11
	s_add_co_u32 s7, s24, s7
	s_add_co_ci_u32 s12, s25, s27
	s_mul_i32 s26, s23, s11
	s_add_co_ci_u32 s27, s19, 0
	s_delay_alu instid0(SALU_CYCLE_1) | instskip(NEXT) | instid1(SALU_CYCLE_1)
	s_add_nc_u64 s[24:25], s[12:13], s[26:27]
	s_and_b64 s[26:27], s[24:25], 0xffffffff00000000
	s_delay_alu instid0(SALU_CYCLE_1) | instskip(NEXT) | instid1(SALU_CYCLE_1)
	s_or_b32 s26, s26, s24
	s_mul_u64 s[24:25], s[16:17], s[26:27]
	s_add_nc_u64 s[28:29], s[26:27], 1
	s_sub_co_u32 s7, s22, s24
	s_cselect_b32 s11, -1, 0
	s_sub_co_i32 s12, s23, s25
	s_cmp_lg_u32 s11, 0
	s_add_nc_u64 s[30:31], s[26:27], 2
	s_sub_co_ci_u32 s12, s12, s17
	s_sub_co_u32 s19, s7, s16
	s_cselect_b32 s22, -1, 0
	s_delay_alu instid0(SALU_CYCLE_1) | instskip(SKIP_1) | instid1(SALU_CYCLE_1)
	s_cmp_lg_u32 s22, 0
	s_sub_co_ci_u32 s12, s12, 0
	s_cmp_ge_u32 s12, s17
	s_cselect_b32 s22, -1, 0
	s_cmp_ge_u32 s19, s16
	s_cselect_b32 s19, -1, 0
	s_cmp_eq_u32 s12, s17
	s_cselect_b32 s12, s19, s22
	s_delay_alu instid0(SALU_CYCLE_1) | instskip(SKIP_4) | instid1(SALU_CYCLE_1)
	s_cmp_lg_u32 s12, 0
	s_cselect_b32 s12, s30, s28
	s_cselect_b32 s19, s31, s29
	s_cmp_lg_u32 s11, 0
	s_sub_co_ci_u32 s11, s23, s25
	s_cmp_ge_u32 s11, s17
	s_cselect_b32 s22, -1, 0
	s_cmp_ge_u32 s7, s16
	s_cselect_b32 s7, -1, 0
	s_cmp_eq_u32 s11, s17
	s_cselect_b32 s7, s7, s22
	s_delay_alu instid0(SALU_CYCLE_1) | instskip(SKIP_3) | instid1(SALU_CYCLE_1)
	s_cmp_lg_u32 s7, 0
	s_cselect_b32 s17, s19, s27
	s_cselect_b32 s16, s12, s26
	s_xor_b64 s[14:15], s[20:21], s[14:15]
	s_xor_b64 s[16:17], s[16:17], s[14:15]
	s_delay_alu instid0(SALU_CYCLE_1)
	s_sub_nc_u64 s[16:17], s[16:17], s[14:15]
	s_load_b32 s17, s[0:1], 0x44
	s_and_not1_b32 vcc_lo, exec_lo, s13
	s_cbranch_vccnz .LBB4_3
.LBB4_2:
	v_cvt_f32_u32_e32 v1, s10
	s_sub_co_i32 s11, 0, s10
	s_delay_alu instid0(VALU_DEP_1) | instskip(SKIP_1) | instid1(TRANS32_DEP_1)
	v_rcp_iflag_f32_e32 v1, v1
	v_nop
	v_mul_f32_e32 v1, 0x4f7ffffe, v1
	s_delay_alu instid0(VALU_DEP_1) | instskip(NEXT) | instid1(VALU_DEP_1)
	v_cvt_u32_f32_e32 v1, v1
	v_readfirstlane_b32 s7, v1
	s_mul_i32 s11, s11, s7
	s_delay_alu instid0(SALU_CYCLE_1) | instskip(NEXT) | instid1(SALU_CYCLE_1)
	s_mul_hi_u32 s11, s7, s11
	s_add_co_i32 s7, s7, s11
	s_delay_alu instid0(SALU_CYCLE_1) | instskip(NEXT) | instid1(SALU_CYCLE_1)
	s_mul_hi_u32 s7, s2, s7
	s_mul_i32 s11, s7, s10
	s_add_co_i32 s12, s7, 1
	s_sub_co_i32 s11, s2, s11
	s_delay_alu instid0(SALU_CYCLE_1)
	s_sub_co_i32 s13, s11, s10
	s_cmp_ge_u32 s11, s10
	s_cselect_b32 s7, s12, s7
	s_cselect_b32 s11, s13, s11
	s_add_co_i32 s12, s7, 1
	s_cmp_ge_u32 s11, s10
	s_cselect_b32 s16, s12, s7
.LBB4_3:
	s_bfe_u32 s7, ttmp6, 0x40010
	s_bfe_u32 s10, ttmp6, 0x40004
	s_add_co_i32 s7, s7, 1
	s_wait_kmcnt 0x0
	s_lshr_b32 s19, s17, 16
	s_mul_i32 s7, ttmp7, s7
	v_bfe_u32 v1, v0, 10, 10
	s_add_co_i32 s10, s10, s7
	s_cmp_eq_u32 s18, 0
	s_cselect_b32 s7, ttmp7, s10
	s_mov_b32 s10, exec_lo
	v_mad_u32 v6, s7, s19, v1
	s_mov_b32 s7, 0
	s_delay_alu instid0(VALU_DEP_1)
	v_cmpx_gt_i32_e64 s8, v6
	s_cbranch_execz .LBB4_9
; %bb.4:
	s_clause 0x2
	s_load_b128 s[12:15], s[0:1], 0x0
	s_load_b32 s18, s[0:1], 0x3c
	s_load_b64 s[10:11], s[0:1], 0x10
	v_and_b32_e32 v7, 0x3ff, v0
	s_wait_xcnt 0x0
	s_mul_i32 s0, s5, s4
	s_ashr_i32 s21, s9, 31
	s_mov_b32 s20, s9
	v_mul_lo_u32 v0, s9, v6
	v_dual_mov_b32 v3, 0 :: v_dual_lshlrev_b32 v2, 3, v7
	s_mul_i32 s0, s0, s6
	s_ashr_i32 s5, s8, 31
	s_mov_b32 s4, s8
	s_mul_u64 s[2:3], s[2:3], s[20:21]
	s_mul_i32 s16, s0, s16
	s_mul_u64 s[20:21], s[2:3], s[4:5]
	s_and_b32 s1, s17, 0xffff
	s_ashr_i32 s17, s16, 31
	v_lshl_add_u64 v[2:3], s[20:21], 3, v[2:3]
	s_lshl_b64 s[16:17], s[16:17], 3
	s_lshl_b32 s6, s1, 3
	s_wait_kmcnt 0x0
	s_mul_i32 s4, s18, s19
	s_add_nc_u64 s[2:3], s[12:13], s[16:17]
	s_mul_i32 s5, s4, s9
	s_mov_b32 s12, s7
	v_cmp_gt_i32_e32 vcc_lo, s9, v7
	s_branch .LBB4_6
.LBB4_5:                                ;   in Loop: Header=BB4_6 Depth=1
	s_or_b32 exec_lo, exec_lo, s13
	v_dual_add_nc_u32 v6, s4, v6 :: v_dual_add_nc_u32 v0, s5, v0
	s_delay_alu instid0(VALU_DEP_1) | instskip(SKIP_1) | instid1(SALU_CYCLE_1)
	v_cmp_le_i32_e64 s0, s8, v6
	s_or_b32 s12, s0, s12
	s_and_not1_b32 exec_lo, exec_lo, s12
	s_cbranch_execz .LBB4_9
.LBB4_6:                                ; =>This Loop Header: Depth=1
                                        ;     Child Loop BB4_8 Depth 2
	s_and_saveexec_b32 s13, vcc_lo
	s_cbranch_execz .LBB4_5
; %bb.7:                                ;   in Loop: Header=BB4_6 Depth=1
	v_ashrrev_i32_e32 v1, 31, v0
	s_mov_b32 s16, 0
	s_delay_alu instid0(VALU_DEP_1)
	v_lshl_add_u64 v[4:5], v[0:1], 3, v[2:3]
	v_mov_b32_e32 v1, v7
.LBB4_8:                                ;   Parent Loop BB4_6 Depth=1
                                        ; =>  This Inner Loop Header: Depth=2
	s_delay_alu instid0(VALU_DEP_2) | instskip(SKIP_1) | instid1(VALU_DEP_3)
	v_add_nc_u64_e32 v[8:9], s[10:11], v[4:5]
	v_add_nc_u64_e32 v[10:11], s[14:15], v[4:5]
	v_add_nc_u32_e32 v1, s1, v1
	v_add_nc_u64_e32 v[4:5], s[6:7], v[4:5]
	global_load_b64 v[12:13], v[8:9], off
	global_load_b64 v[14:15], v[10:11], off
	v_cmp_le_i32_e64 s0, s9, v1
	s_or_b32 s16, s0, s16
	s_wait_loadcnt 0x1
	s_wait_xcnt 0x1
	v_lshl_add_u64 v[8:9], v[12:13], 3, s[2:3]
	s_wait_xcnt 0x0
	s_wait_loadcnt 0x0
	global_atomic_add_f64 v[8:9], v[14:15], off scope:SCOPE_DEV
	s_wait_xcnt 0x0
	s_and_not1_b32 exec_lo, exec_lo, s16
	s_cbranch_execnz .LBB4_8
	s_branch .LBB4_5
.LBB4_9:
	s_endpgm
.LBB4_10:
                                        ; implicit-def: $sgpr16_sgpr17
	s_load_b32 s17, s[0:1], 0x44
	s_branch .LBB4_2
	.section	.rodata,"a",@progbits
	.p2align	6, 0x0
	.amdhsa_kernel _ZN2at6native12_GLOBAL__N_126atomicadaptivemaxgradinputIdEEvPT_PKS3_PKliiiiiil
		.amdhsa_group_segment_fixed_size 0
		.amdhsa_private_segment_fixed_size 0
		.amdhsa_kernarg_size 312
		.amdhsa_user_sgpr_count 2
		.amdhsa_user_sgpr_dispatch_ptr 0
		.amdhsa_user_sgpr_queue_ptr 0
		.amdhsa_user_sgpr_kernarg_segment_ptr 1
		.amdhsa_user_sgpr_dispatch_id 0
		.amdhsa_user_sgpr_kernarg_preload_length 0
		.amdhsa_user_sgpr_kernarg_preload_offset 0
		.amdhsa_user_sgpr_private_segment_size 0
		.amdhsa_wavefront_size32 1
		.amdhsa_uses_dynamic_stack 0
		.amdhsa_enable_private_segment 0
		.amdhsa_system_sgpr_workgroup_id_x 1
		.amdhsa_system_sgpr_workgroup_id_y 1
		.amdhsa_system_sgpr_workgroup_id_z 0
		.amdhsa_system_sgpr_workgroup_info 0
		.amdhsa_system_vgpr_workitem_id 1
		.amdhsa_next_free_vgpr 16
		.amdhsa_next_free_sgpr 32
		.amdhsa_named_barrier_count 0
		.amdhsa_reserve_vcc 1
		.amdhsa_float_round_mode_32 0
		.amdhsa_float_round_mode_16_64 0
		.amdhsa_float_denorm_mode_32 3
		.amdhsa_float_denorm_mode_16_64 3
		.amdhsa_fp16_overflow 0
		.amdhsa_memory_ordered 1
		.amdhsa_forward_progress 1
		.amdhsa_inst_pref_size 10
		.amdhsa_round_robin_scheduling 0
		.amdhsa_exception_fp_ieee_invalid_op 0
		.amdhsa_exception_fp_denorm_src 0
		.amdhsa_exception_fp_ieee_div_zero 0
		.amdhsa_exception_fp_ieee_overflow 0
		.amdhsa_exception_fp_ieee_underflow 0
		.amdhsa_exception_fp_ieee_inexact 0
		.amdhsa_exception_int_div_zero 0
	.end_amdhsa_kernel
	.section	.text._ZN2at6native12_GLOBAL__N_126atomicadaptivemaxgradinputIdEEvPT_PKS3_PKliiiiiil,"axG",@progbits,_ZN2at6native12_GLOBAL__N_126atomicadaptivemaxgradinputIdEEvPT_PKS3_PKliiiiiil,comdat
.Lfunc_end4:
	.size	_ZN2at6native12_GLOBAL__N_126atomicadaptivemaxgradinputIdEEvPT_PKS3_PKliiiiiil, .Lfunc_end4-_ZN2at6native12_GLOBAL__N_126atomicadaptivemaxgradinputIdEEvPT_PKS3_PKliiiiiil
                                        ; -- End function
	.set _ZN2at6native12_GLOBAL__N_126atomicadaptivemaxgradinputIdEEvPT_PKS3_PKliiiiiil.num_vgpr, 16
	.set _ZN2at6native12_GLOBAL__N_126atomicadaptivemaxgradinputIdEEvPT_PKS3_PKliiiiiil.num_agpr, 0
	.set _ZN2at6native12_GLOBAL__N_126atomicadaptivemaxgradinputIdEEvPT_PKS3_PKliiiiiil.numbered_sgpr, 32
	.set _ZN2at6native12_GLOBAL__N_126atomicadaptivemaxgradinputIdEEvPT_PKS3_PKliiiiiil.num_named_barrier, 0
	.set _ZN2at6native12_GLOBAL__N_126atomicadaptivemaxgradinputIdEEvPT_PKS3_PKliiiiiil.private_seg_size, 0
	.set _ZN2at6native12_GLOBAL__N_126atomicadaptivemaxgradinputIdEEvPT_PKS3_PKliiiiiil.uses_vcc, 1
	.set _ZN2at6native12_GLOBAL__N_126atomicadaptivemaxgradinputIdEEvPT_PKS3_PKliiiiiil.uses_flat_scratch, 0
	.set _ZN2at6native12_GLOBAL__N_126atomicadaptivemaxgradinputIdEEvPT_PKS3_PKliiiiiil.has_dyn_sized_stack, 0
	.set _ZN2at6native12_GLOBAL__N_126atomicadaptivemaxgradinputIdEEvPT_PKS3_PKliiiiiil.has_recursion, 0
	.set _ZN2at6native12_GLOBAL__N_126atomicadaptivemaxgradinputIdEEvPT_PKS3_PKliiiiiil.has_indirect_call, 0
	.section	.AMDGPU.csdata,"",@progbits
; Kernel info:
; codeLenInByte = 1164
; TotalNumSgprs: 34
; NumVgprs: 16
; ScratchSize: 0
; MemoryBound: 0
; FloatMode: 240
; IeeeMode: 1
; LDSByteSize: 0 bytes/workgroup (compile time only)
; SGPRBlocks: 0
; VGPRBlocks: 0
; NumSGPRsForWavesPerEU: 34
; NumVGPRsForWavesPerEU: 16
; NamedBarCnt: 0
; Occupancy: 16
; WaveLimiterHint : 1
; COMPUTE_PGM_RSRC2:SCRATCH_EN: 0
; COMPUTE_PGM_RSRC2:USER_SGPR: 2
; COMPUTE_PGM_RSRC2:TRAP_HANDLER: 0
; COMPUTE_PGM_RSRC2:TGID_X_EN: 1
; COMPUTE_PGM_RSRC2:TGID_Y_EN: 1
; COMPUTE_PGM_RSRC2:TGID_Z_EN: 0
; COMPUTE_PGM_RSRC2:TIDIG_COMP_CNT: 1
	.section	.text._ZN2at6native12_GLOBAL__N_126atomicadaptivemaxgradinputIfEEvPT_PKS3_PKliiiiiil,"axG",@progbits,_ZN2at6native12_GLOBAL__N_126atomicadaptivemaxgradinputIfEEvPT_PKS3_PKliiiiiil,comdat
	.globl	_ZN2at6native12_GLOBAL__N_126atomicadaptivemaxgradinputIfEEvPT_PKS3_PKliiiiiil ; -- Begin function _ZN2at6native12_GLOBAL__N_126atomicadaptivemaxgradinputIfEEvPT_PKS3_PKliiiiiil
	.p2align	8
	.type	_ZN2at6native12_GLOBAL__N_126atomicadaptivemaxgradinputIfEEvPT_PKS3_PKliiiiiil,@function
_ZN2at6native12_GLOBAL__N_126atomicadaptivemaxgradinputIfEEvPT_PKS3_PKliiiiiil: ; @_ZN2at6native12_GLOBAL__N_126atomicadaptivemaxgradinputIfEEvPT_PKS3_PKliiiiiil
; %bb.0:
	s_load_b256 s[4:11], s[0:1], 0x18
	s_bfe_u32 s2, ttmp6, 0x4000c
	s_and_b32 s3, ttmp6, 15
	s_add_co_i32 s2, s2, 1
	s_getreg_b32 s18, hwreg(HW_REG_IB_STS2, 6, 4)
	s_mul_i32 s2, ttmp9, s2
	s_mov_b32 s13, 0
	s_add_co_i32 s3, s3, s2
	s_cmp_eq_u32 s18, 0
	s_cselect_b32 s12, ttmp9, s3
	s_wait_kmcnt 0x0
	s_add_nc_u64 s[2:3], s[10:11], s[12:13]
	s_ashr_i32 s11, s7, 31
	s_mov_b32 s10, s7
	s_delay_alu instid0(SALU_CYCLE_1) | instskip(NEXT) | instid1(SALU_CYCLE_1)
	s_or_b64 s[14:15], s[2:3], s[10:11]
	s_and_b64 s[14:15], s[14:15], 0xffffffff00000000
	s_delay_alu instid0(SALU_CYCLE_1)
	s_cmp_lg_u64 s[14:15], 0
	s_cbranch_scc0 .LBB5_10
; %bb.1:
	s_ashr_i32 s14, s11, 31
	s_delay_alu instid0(SALU_CYCLE_1) | instskip(NEXT) | instid1(SALU_CYCLE_1)
	s_mov_b32 s15, s14
	s_add_nc_u64 s[16:17], s[10:11], s[14:15]
	s_delay_alu instid0(SALU_CYCLE_1) | instskip(NEXT) | instid1(SALU_CYCLE_1)
	s_xor_b64 s[16:17], s[16:17], s[14:15]
	s_cvt_f32_u32 s7, s16
	s_cvt_f32_u32 s11, s17
	s_sub_nc_u64 s[22:23], 0, s[16:17]
	s_delay_alu instid0(SALU_CYCLE_2) | instskip(NEXT) | instid1(SALU_CYCLE_3)
	s_fmamk_f32 s7, s11, 0x4f800000, s7
	v_s_rcp_f32 s7, s7
	s_delay_alu instid0(TRANS32_DEP_1) | instskip(NEXT) | instid1(SALU_CYCLE_3)
	s_mul_f32 s7, s7, 0x5f7ffffc
	s_mul_f32 s11, s7, 0x2f800000
	s_delay_alu instid0(SALU_CYCLE_3) | instskip(NEXT) | instid1(SALU_CYCLE_3)
	s_trunc_f32 s11, s11
	s_fmamk_f32 s7, s11, 0xcf800000, s7
	s_cvt_u32_f32 s21, s11
	s_delay_alu instid0(SALU_CYCLE_2) | instskip(NEXT) | instid1(SALU_CYCLE_3)
	s_cvt_u32_f32 s20, s7
	s_mul_u64 s[24:25], s[22:23], s[20:21]
	s_delay_alu instid0(SALU_CYCLE_1)
	s_mul_hi_u32 s27, s20, s25
	s_mul_i32 s26, s20, s25
	s_mul_hi_u32 s12, s20, s24
	s_mul_i32 s11, s21, s24
	s_add_nc_u64 s[26:27], s[12:13], s[26:27]
	s_mul_hi_u32 s7, s21, s24
	s_mul_hi_u32 s19, s21, s25
	s_add_co_u32 s11, s26, s11
	s_add_co_ci_u32 s12, s27, s7
	s_mul_i32 s24, s21, s25
	s_add_co_ci_u32 s25, s19, 0
	s_delay_alu instid0(SALU_CYCLE_1) | instskip(NEXT) | instid1(SALU_CYCLE_1)
	s_add_nc_u64 s[24:25], s[12:13], s[24:25]
	s_add_co_u32 s20, s20, s24
	s_cselect_b32 s7, -1, 0
	s_delay_alu instid0(SALU_CYCLE_1) | instskip(SKIP_1) | instid1(SALU_CYCLE_1)
	s_cmp_lg_u32 s7, 0
	s_add_co_ci_u32 s21, s21, s25
	s_mul_u64 s[22:23], s[22:23], s[20:21]
	s_delay_alu instid0(SALU_CYCLE_1)
	s_mul_hi_u32 s25, s20, s23
	s_mul_i32 s24, s20, s23
	s_mul_hi_u32 s12, s20, s22
	s_mul_i32 s11, s21, s22
	s_add_nc_u64 s[24:25], s[12:13], s[24:25]
	s_mul_hi_u32 s7, s21, s22
	s_mul_hi_u32 s19, s21, s23
	s_add_co_u32 s11, s24, s11
	s_add_co_ci_u32 s12, s25, s7
	s_mul_i32 s22, s21, s23
	s_add_co_ci_u32 s23, s19, 0
	s_delay_alu instid0(SALU_CYCLE_1) | instskip(NEXT) | instid1(SALU_CYCLE_1)
	s_add_nc_u64 s[22:23], s[12:13], s[22:23]
	s_add_co_u32 s7, s20, s22
	s_cselect_b32 s11, -1, 0
	s_delay_alu instid0(SALU_CYCLE_1) | instskip(SKIP_2) | instid1(SALU_CYCLE_1)
	s_cmp_lg_u32 s11, 0
	s_add_co_ci_u32 s11, s21, s23
	s_ashr_i32 s20, s3, 31
	s_mov_b32 s21, s20
	s_delay_alu instid0(SALU_CYCLE_1) | instskip(NEXT) | instid1(SALU_CYCLE_1)
	s_add_nc_u64 s[22:23], s[2:3], s[20:21]
	s_xor_b64 s[22:23], s[22:23], s[20:21]
	s_delay_alu instid0(SALU_CYCLE_1)
	s_mul_hi_u32 s25, s22, s11
	s_mul_i32 s24, s22, s11
	s_mul_hi_u32 s12, s22, s7
	s_mul_hi_u32 s27, s23, s7
	s_mul_i32 s7, s23, s7
	s_add_nc_u64 s[24:25], s[12:13], s[24:25]
	s_mul_hi_u32 s19, s23, s11
	s_add_co_u32 s7, s24, s7
	s_add_co_ci_u32 s12, s25, s27
	s_mul_i32 s26, s23, s11
	s_add_co_ci_u32 s27, s19, 0
	s_delay_alu instid0(SALU_CYCLE_1) | instskip(NEXT) | instid1(SALU_CYCLE_1)
	s_add_nc_u64 s[24:25], s[12:13], s[26:27]
	s_and_b64 s[26:27], s[24:25], 0xffffffff00000000
	s_delay_alu instid0(SALU_CYCLE_1) | instskip(NEXT) | instid1(SALU_CYCLE_1)
	s_or_b32 s26, s26, s24
	s_mul_u64 s[24:25], s[16:17], s[26:27]
	s_add_nc_u64 s[28:29], s[26:27], 1
	s_sub_co_u32 s7, s22, s24
	s_cselect_b32 s11, -1, 0
	s_sub_co_i32 s12, s23, s25
	s_cmp_lg_u32 s11, 0
	s_add_nc_u64 s[30:31], s[26:27], 2
	s_sub_co_ci_u32 s12, s12, s17
	s_sub_co_u32 s19, s7, s16
	s_cselect_b32 s22, -1, 0
	s_delay_alu instid0(SALU_CYCLE_1) | instskip(SKIP_1) | instid1(SALU_CYCLE_1)
	s_cmp_lg_u32 s22, 0
	s_sub_co_ci_u32 s12, s12, 0
	s_cmp_ge_u32 s12, s17
	s_cselect_b32 s22, -1, 0
	s_cmp_ge_u32 s19, s16
	s_cselect_b32 s19, -1, 0
	s_cmp_eq_u32 s12, s17
	s_cselect_b32 s12, s19, s22
	s_delay_alu instid0(SALU_CYCLE_1) | instskip(SKIP_4) | instid1(SALU_CYCLE_1)
	s_cmp_lg_u32 s12, 0
	s_cselect_b32 s12, s30, s28
	s_cselect_b32 s19, s31, s29
	s_cmp_lg_u32 s11, 0
	s_sub_co_ci_u32 s11, s23, s25
	s_cmp_ge_u32 s11, s17
	s_cselect_b32 s22, -1, 0
	s_cmp_ge_u32 s7, s16
	s_cselect_b32 s7, -1, 0
	s_cmp_eq_u32 s11, s17
	s_cselect_b32 s7, s7, s22
	s_delay_alu instid0(SALU_CYCLE_1) | instskip(SKIP_3) | instid1(SALU_CYCLE_1)
	s_cmp_lg_u32 s7, 0
	s_cselect_b32 s17, s19, s27
	s_cselect_b32 s16, s12, s26
	s_xor_b64 s[14:15], s[20:21], s[14:15]
	s_xor_b64 s[16:17], s[16:17], s[14:15]
	s_delay_alu instid0(SALU_CYCLE_1)
	s_sub_nc_u64 s[14:15], s[16:17], s[14:15]
	s_load_b32 s11, s[0:1], 0x44
	s_and_not1_b32 vcc_lo, exec_lo, s13
	s_cbranch_vccnz .LBB5_3
.LBB5_2:
	v_cvt_f32_u32_e32 v1, s10
	s_sub_co_i32 s12, 0, s10
	s_delay_alu instid0(VALU_DEP_1) | instskip(SKIP_1) | instid1(TRANS32_DEP_1)
	v_rcp_iflag_f32_e32 v1, v1
	v_nop
	v_mul_f32_e32 v1, 0x4f7ffffe, v1
	s_delay_alu instid0(VALU_DEP_1) | instskip(NEXT) | instid1(VALU_DEP_1)
	v_cvt_u32_f32_e32 v1, v1
	v_readfirstlane_b32 s7, v1
	s_mul_i32 s12, s12, s7
	s_delay_alu instid0(SALU_CYCLE_1) | instskip(NEXT) | instid1(SALU_CYCLE_1)
	s_mul_hi_u32 s12, s7, s12
	s_add_co_i32 s7, s7, s12
	s_delay_alu instid0(SALU_CYCLE_1) | instskip(NEXT) | instid1(SALU_CYCLE_1)
	s_mul_hi_u32 s7, s2, s7
	s_mul_i32 s12, s7, s10
	s_add_co_i32 s13, s7, 1
	s_sub_co_i32 s12, s2, s12
	s_delay_alu instid0(SALU_CYCLE_1)
	s_sub_co_i32 s14, s12, s10
	s_cmp_ge_u32 s12, s10
	s_cselect_b32 s7, s13, s7
	s_cselect_b32 s12, s14, s12
	s_add_co_i32 s13, s7, 1
	s_cmp_ge_u32 s12, s10
	s_cselect_b32 s14, s13, s7
.LBB5_3:
	s_bfe_u32 s7, ttmp6, 0x40010
	s_bfe_u32 s12, ttmp6, 0x40004
	s_add_co_i32 s7, s7, 1
	s_wait_kmcnt 0x0
	s_lshr_b32 s10, s11, 16
	s_mul_i32 s7, ttmp7, s7
	v_bfe_u32 v1, v0, 10, 10
	s_add_co_i32 s12, s12, s7
	s_cmp_eq_u32 s18, 0
	s_cselect_b32 s7, ttmp7, s12
	s_mov_b32 s12, exec_lo
	v_mad_u32 v10, s7, s10, v1
	s_mov_b32 s7, 0
	s_delay_alu instid0(VALU_DEP_1)
	v_cmpx_gt_i32_e64 s8, v10
	s_cbranch_execz .LBB5_9
; %bb.4:
	s_clause 0x2
	s_load_b128 s[16:19], s[0:1], 0x0
	s_load_b32 s20, s[0:1], 0x3c
	s_load_b64 s[12:13], s[0:1], 0x10
	s_mul_i32 s15, s5, s4
	s_ashr_i32 s5, s9, 31
	s_mov_b32 s4, s9
	v_and_b32_e32 v11, 0x3ff, v0
	s_mul_i32 s6, s15, s6
	s_wait_xcnt 0x0
	s_ashr_i32 s1, s8, 31
	s_mov_b32 s0, s8
	s_mul_u64 s[2:3], s[2:3], s[4:5]
	s_mul_i32 s4, s6, s14
	s_mul_u64 s[14:15], s[2:3], s[0:1]
	s_ashr_i32 s5, s4, 31
	v_dual_mov_b32 v5, 0 :: v_dual_lshlrev_b32 v4, 2, v11
	s_lshl_b64 s[0:1], s[4:5], 2
	s_lshl_b64 s[4:5], s[14:15], 2
	v_mul_lo_u32 v0, s9, v10
	v_cmp_gt_i32_e32 vcc_lo, s9, v11
	s_wait_kmcnt 0x0
	s_add_nc_u64 s[4:5], s[18:19], s[4:5]
	s_add_nc_u64 s[2:3], s[16:17], s[0:1]
	v_add_nc_u64_e32 v[2:3], s[4:5], v[4:5]
	v_lshlrev_b32_e32 v4, 3, v11
	s_lshl_b64 s[4:5], s[14:15], 3
	s_mul_i32 s1, s20, s10
	s_add_nc_u64 s[4:5], s[12:13], s[4:5]
	s_and_b32 s10, s11, 0xffff
	v_add_nc_u64_e32 v[4:5], s[4:5], v[4:5]
	s_mul_i32 s11, s1, s9
	s_lshl_b32 s6, s10, 2
	s_lshl_b32 s4, s10, 3
	s_mov_b32 s5, s7
	s_mov_b32 s12, s7
	s_branch .LBB5_6
.LBB5_5:                                ;   in Loop: Header=BB5_6 Depth=1
	s_or_b32 exec_lo, exec_lo, s13
	v_dual_add_nc_u32 v10, s1, v10 :: v_dual_add_nc_u32 v0, s11, v0
	s_delay_alu instid0(VALU_DEP_1) | instskip(SKIP_1) | instid1(SALU_CYCLE_1)
	v_cmp_le_i32_e64 s0, s8, v10
	s_or_b32 s12, s0, s12
	s_and_not1_b32 exec_lo, exec_lo, s12
	s_cbranch_execz .LBB5_9
.LBB5_6:                                ; =>This Loop Header: Depth=1
                                        ;     Child Loop BB5_8 Depth 2
	s_and_saveexec_b32 s13, vcc_lo
	s_cbranch_execz .LBB5_5
; %bb.7:                                ;   in Loop: Header=BB5_6 Depth=1
	v_ashrrev_i32_e32 v1, 31, v0
	s_mov_b32 s14, 0
	s_delay_alu instid0(VALU_DEP_1)
	v_lshl_add_u64 v[6:7], v[0:1], 2, v[2:3]
	v_lshl_add_u64 v[8:9], v[0:1], 3, v[4:5]
	v_mov_b32_e32 v1, v11
.LBB5_8:                                ;   Parent Loop BB5_6 Depth=1
                                        ; =>  This Inner Loop Header: Depth=2
	global_load_b64 v[12:13], v[8:9], off
	global_load_b32 v14, v[6:7], off
	v_add_nc_u32_e32 v1, s10, v1
	s_wait_xcnt 0x0
	v_add_nc_u64_e32 v[6:7], s[6:7], v[6:7]
	v_add_nc_u64_e32 v[8:9], s[4:5], v[8:9]
	s_delay_alu instid0(VALU_DEP_3)
	v_cmp_le_i32_e64 s0, s9, v1
	s_or_b32 s14, s0, s14
	s_wait_loadcnt 0x1
	v_lshl_add_u64 v[12:13], v[12:13], 2, s[2:3]
	s_wait_loadcnt 0x0
	global_atomic_add_f32 v[12:13], v14, off scope:SCOPE_DEV
	s_wait_xcnt 0x0
	s_and_not1_b32 exec_lo, exec_lo, s14
	s_cbranch_execnz .LBB5_8
	s_branch .LBB5_5
.LBB5_9:
	s_endpgm
.LBB5_10:
                                        ; implicit-def: $sgpr14_sgpr15
	s_load_b32 s11, s[0:1], 0x44
	s_branch .LBB5_2
	.section	.rodata,"a",@progbits
	.p2align	6, 0x0
	.amdhsa_kernel _ZN2at6native12_GLOBAL__N_126atomicadaptivemaxgradinputIfEEvPT_PKS3_PKliiiiiil
		.amdhsa_group_segment_fixed_size 0
		.amdhsa_private_segment_fixed_size 0
		.amdhsa_kernarg_size 312
		.amdhsa_user_sgpr_count 2
		.amdhsa_user_sgpr_dispatch_ptr 0
		.amdhsa_user_sgpr_queue_ptr 0
		.amdhsa_user_sgpr_kernarg_segment_ptr 1
		.amdhsa_user_sgpr_dispatch_id 0
		.amdhsa_user_sgpr_kernarg_preload_length 0
		.amdhsa_user_sgpr_kernarg_preload_offset 0
		.amdhsa_user_sgpr_private_segment_size 0
		.amdhsa_wavefront_size32 1
		.amdhsa_uses_dynamic_stack 0
		.amdhsa_enable_private_segment 0
		.amdhsa_system_sgpr_workgroup_id_x 1
		.amdhsa_system_sgpr_workgroup_id_y 1
		.amdhsa_system_sgpr_workgroup_id_z 0
		.amdhsa_system_sgpr_workgroup_info 0
		.amdhsa_system_vgpr_workitem_id 1
		.amdhsa_next_free_vgpr 15
		.amdhsa_next_free_sgpr 32
		.amdhsa_named_barrier_count 0
		.amdhsa_reserve_vcc 1
		.amdhsa_float_round_mode_32 0
		.amdhsa_float_round_mode_16_64 0
		.amdhsa_float_denorm_mode_32 3
		.amdhsa_float_denorm_mode_16_64 3
		.amdhsa_fp16_overflow 0
		.amdhsa_memory_ordered 1
		.amdhsa_forward_progress 1
		.amdhsa_inst_pref_size 10
		.amdhsa_round_robin_scheduling 0
		.amdhsa_exception_fp_ieee_invalid_op 0
		.amdhsa_exception_fp_denorm_src 0
		.amdhsa_exception_fp_ieee_div_zero 0
		.amdhsa_exception_fp_ieee_overflow 0
		.amdhsa_exception_fp_ieee_underflow 0
		.amdhsa_exception_fp_ieee_inexact 0
		.amdhsa_exception_int_div_zero 0
	.end_amdhsa_kernel
	.section	.text._ZN2at6native12_GLOBAL__N_126atomicadaptivemaxgradinputIfEEvPT_PKS3_PKliiiiiil,"axG",@progbits,_ZN2at6native12_GLOBAL__N_126atomicadaptivemaxgradinputIfEEvPT_PKS3_PKliiiiiil,comdat
.Lfunc_end5:
	.size	_ZN2at6native12_GLOBAL__N_126atomicadaptivemaxgradinputIfEEvPT_PKS3_PKliiiiiil, .Lfunc_end5-_ZN2at6native12_GLOBAL__N_126atomicadaptivemaxgradinputIfEEvPT_PKS3_PKliiiiiil
                                        ; -- End function
	.set _ZN2at6native12_GLOBAL__N_126atomicadaptivemaxgradinputIfEEvPT_PKS3_PKliiiiiil.num_vgpr, 15
	.set _ZN2at6native12_GLOBAL__N_126atomicadaptivemaxgradinputIfEEvPT_PKS3_PKliiiiiil.num_agpr, 0
	.set _ZN2at6native12_GLOBAL__N_126atomicadaptivemaxgradinputIfEEvPT_PKS3_PKliiiiiil.numbered_sgpr, 32
	.set _ZN2at6native12_GLOBAL__N_126atomicadaptivemaxgradinputIfEEvPT_PKS3_PKliiiiiil.num_named_barrier, 0
	.set _ZN2at6native12_GLOBAL__N_126atomicadaptivemaxgradinputIfEEvPT_PKS3_PKliiiiiil.private_seg_size, 0
	.set _ZN2at6native12_GLOBAL__N_126atomicadaptivemaxgradinputIfEEvPT_PKS3_PKliiiiiil.uses_vcc, 1
	.set _ZN2at6native12_GLOBAL__N_126atomicadaptivemaxgradinputIfEEvPT_PKS3_PKliiiiiil.uses_flat_scratch, 0
	.set _ZN2at6native12_GLOBAL__N_126atomicadaptivemaxgradinputIfEEvPT_PKS3_PKliiiiiil.has_dyn_sized_stack, 0
	.set _ZN2at6native12_GLOBAL__N_126atomicadaptivemaxgradinputIfEEvPT_PKS3_PKliiiiiil.has_recursion, 0
	.set _ZN2at6native12_GLOBAL__N_126atomicadaptivemaxgradinputIfEEvPT_PKS3_PKliiiiiil.has_indirect_call, 0
	.section	.AMDGPU.csdata,"",@progbits
; Kernel info:
; codeLenInByte = 1192
; TotalNumSgprs: 34
; NumVgprs: 15
; ScratchSize: 0
; MemoryBound: 0
; FloatMode: 240
; IeeeMode: 1
; LDSByteSize: 0 bytes/workgroup (compile time only)
; SGPRBlocks: 0
; VGPRBlocks: 0
; NumSGPRsForWavesPerEU: 34
; NumVGPRsForWavesPerEU: 15
; NamedBarCnt: 0
; Occupancy: 16
; WaveLimiterHint : 1
; COMPUTE_PGM_RSRC2:SCRATCH_EN: 0
; COMPUTE_PGM_RSRC2:USER_SGPR: 2
; COMPUTE_PGM_RSRC2:TRAP_HANDLER: 0
; COMPUTE_PGM_RSRC2:TGID_X_EN: 1
; COMPUTE_PGM_RSRC2:TGID_Y_EN: 1
; COMPUTE_PGM_RSRC2:TGID_Z_EN: 0
; COMPUTE_PGM_RSRC2:TIDIG_COMP_CNT: 1
	.section	.text._ZN2at6native12_GLOBAL__N_126atomicadaptivemaxgradinputIN3c104HalfEEEvPT_PKS5_PKliiiiiil,"axG",@progbits,_ZN2at6native12_GLOBAL__N_126atomicadaptivemaxgradinputIN3c104HalfEEEvPT_PKS5_PKliiiiiil,comdat
	.globl	_ZN2at6native12_GLOBAL__N_126atomicadaptivemaxgradinputIN3c104HalfEEEvPT_PKS5_PKliiiiiil ; -- Begin function _ZN2at6native12_GLOBAL__N_126atomicadaptivemaxgradinputIN3c104HalfEEEvPT_PKS5_PKliiiiiil
	.p2align	8
	.type	_ZN2at6native12_GLOBAL__N_126atomicadaptivemaxgradinputIN3c104HalfEEEvPT_PKS5_PKliiiiiil,@function
_ZN2at6native12_GLOBAL__N_126atomicadaptivemaxgradinputIN3c104HalfEEEvPT_PKS5_PKliiiiiil: ; @_ZN2at6native12_GLOBAL__N_126atomicadaptivemaxgradinputIN3c104HalfEEEvPT_PKS5_PKliiiiiil
; %bb.0:
	s_load_b256 s[4:11], s[0:1], 0x18
	s_bfe_u32 s2, ttmp6, 0x4000c
	s_and_b32 s3, ttmp6, 15
	s_add_co_i32 s2, s2, 1
	s_getreg_b32 s18, hwreg(HW_REG_IB_STS2, 6, 4)
	s_mul_i32 s2, ttmp9, s2
	s_mov_b32 s13, 0
	s_add_co_i32 s3, s3, s2
	s_cmp_eq_u32 s18, 0
	s_cselect_b32 s12, ttmp9, s3
	s_wait_kmcnt 0x0
	s_add_nc_u64 s[2:3], s[10:11], s[12:13]
	s_ashr_i32 s11, s7, 31
	s_mov_b32 s10, s7
	s_delay_alu instid0(SALU_CYCLE_1) | instskip(NEXT) | instid1(SALU_CYCLE_1)
	s_or_b64 s[14:15], s[2:3], s[10:11]
	s_and_b64 s[14:15], s[14:15], 0xffffffff00000000
	s_delay_alu instid0(SALU_CYCLE_1)
	s_cmp_lg_u64 s[14:15], 0
	s_cbranch_scc0 .LBB6_16
; %bb.1:
	s_ashr_i32 s14, s11, 31
	s_delay_alu instid0(SALU_CYCLE_1) | instskip(NEXT) | instid1(SALU_CYCLE_1)
	s_mov_b32 s15, s14
	s_add_nc_u64 s[16:17], s[10:11], s[14:15]
	s_delay_alu instid0(SALU_CYCLE_1) | instskip(NEXT) | instid1(SALU_CYCLE_1)
	s_xor_b64 s[16:17], s[16:17], s[14:15]
	s_cvt_f32_u32 s7, s16
	s_cvt_f32_u32 s11, s17
	s_sub_nc_u64 s[22:23], 0, s[16:17]
	s_delay_alu instid0(SALU_CYCLE_2) | instskip(NEXT) | instid1(SALU_CYCLE_3)
	s_fmamk_f32 s7, s11, 0x4f800000, s7
	v_s_rcp_f32 s7, s7
	s_delay_alu instid0(TRANS32_DEP_1) | instskip(NEXT) | instid1(SALU_CYCLE_3)
	s_mul_f32 s7, s7, 0x5f7ffffc
	s_mul_f32 s11, s7, 0x2f800000
	s_delay_alu instid0(SALU_CYCLE_3) | instskip(NEXT) | instid1(SALU_CYCLE_3)
	s_trunc_f32 s11, s11
	s_fmamk_f32 s7, s11, 0xcf800000, s7
	s_cvt_u32_f32 s21, s11
	s_delay_alu instid0(SALU_CYCLE_2) | instskip(NEXT) | instid1(SALU_CYCLE_3)
	s_cvt_u32_f32 s20, s7
	s_mul_u64 s[24:25], s[22:23], s[20:21]
	s_delay_alu instid0(SALU_CYCLE_1)
	s_mul_hi_u32 s27, s20, s25
	s_mul_i32 s26, s20, s25
	s_mul_hi_u32 s12, s20, s24
	s_mul_i32 s11, s21, s24
	s_add_nc_u64 s[26:27], s[12:13], s[26:27]
	s_mul_hi_u32 s7, s21, s24
	s_mul_hi_u32 s19, s21, s25
	s_add_co_u32 s11, s26, s11
	s_add_co_ci_u32 s12, s27, s7
	s_mul_i32 s24, s21, s25
	s_add_co_ci_u32 s25, s19, 0
	s_delay_alu instid0(SALU_CYCLE_1) | instskip(NEXT) | instid1(SALU_CYCLE_1)
	s_add_nc_u64 s[24:25], s[12:13], s[24:25]
	s_add_co_u32 s20, s20, s24
	s_cselect_b32 s7, -1, 0
	s_delay_alu instid0(SALU_CYCLE_1) | instskip(SKIP_1) | instid1(SALU_CYCLE_1)
	s_cmp_lg_u32 s7, 0
	s_add_co_ci_u32 s21, s21, s25
	s_mul_u64 s[22:23], s[22:23], s[20:21]
	s_delay_alu instid0(SALU_CYCLE_1)
	s_mul_hi_u32 s25, s20, s23
	s_mul_i32 s24, s20, s23
	s_mul_hi_u32 s12, s20, s22
	s_mul_i32 s11, s21, s22
	s_add_nc_u64 s[24:25], s[12:13], s[24:25]
	s_mul_hi_u32 s7, s21, s22
	s_mul_hi_u32 s19, s21, s23
	s_add_co_u32 s11, s24, s11
	s_add_co_ci_u32 s12, s25, s7
	s_mul_i32 s22, s21, s23
	s_add_co_ci_u32 s23, s19, 0
	s_delay_alu instid0(SALU_CYCLE_1) | instskip(NEXT) | instid1(SALU_CYCLE_1)
	s_add_nc_u64 s[22:23], s[12:13], s[22:23]
	s_add_co_u32 s7, s20, s22
	s_cselect_b32 s11, -1, 0
	s_delay_alu instid0(SALU_CYCLE_1) | instskip(SKIP_2) | instid1(SALU_CYCLE_1)
	s_cmp_lg_u32 s11, 0
	s_add_co_ci_u32 s11, s21, s23
	s_ashr_i32 s20, s3, 31
	s_mov_b32 s21, s20
	s_delay_alu instid0(SALU_CYCLE_1) | instskip(NEXT) | instid1(SALU_CYCLE_1)
	s_add_nc_u64 s[22:23], s[2:3], s[20:21]
	s_xor_b64 s[22:23], s[22:23], s[20:21]
	s_delay_alu instid0(SALU_CYCLE_1)
	s_mul_hi_u32 s25, s22, s11
	s_mul_i32 s24, s22, s11
	s_mul_hi_u32 s12, s22, s7
	s_mul_hi_u32 s27, s23, s7
	s_mul_i32 s7, s23, s7
	s_add_nc_u64 s[24:25], s[12:13], s[24:25]
	s_mul_hi_u32 s19, s23, s11
	s_add_co_u32 s7, s24, s7
	s_add_co_ci_u32 s12, s25, s27
	s_mul_i32 s26, s23, s11
	s_add_co_ci_u32 s27, s19, 0
	s_delay_alu instid0(SALU_CYCLE_1) | instskip(NEXT) | instid1(SALU_CYCLE_1)
	s_add_nc_u64 s[24:25], s[12:13], s[26:27]
	s_and_b64 s[26:27], s[24:25], 0xffffffff00000000
	s_delay_alu instid0(SALU_CYCLE_1) | instskip(NEXT) | instid1(SALU_CYCLE_1)
	s_or_b32 s26, s26, s24
	s_mul_u64 s[24:25], s[16:17], s[26:27]
	s_add_nc_u64 s[28:29], s[26:27], 1
	s_sub_co_u32 s7, s22, s24
	s_cselect_b32 s11, -1, 0
	s_sub_co_i32 s12, s23, s25
	s_cmp_lg_u32 s11, 0
	s_add_nc_u64 s[30:31], s[26:27], 2
	s_sub_co_ci_u32 s12, s12, s17
	s_sub_co_u32 s19, s7, s16
	s_cselect_b32 s22, -1, 0
	s_delay_alu instid0(SALU_CYCLE_1) | instskip(SKIP_1) | instid1(SALU_CYCLE_1)
	s_cmp_lg_u32 s22, 0
	s_sub_co_ci_u32 s12, s12, 0
	s_cmp_ge_u32 s12, s17
	s_cselect_b32 s22, -1, 0
	s_cmp_ge_u32 s19, s16
	s_cselect_b32 s19, -1, 0
	s_cmp_eq_u32 s12, s17
	s_cselect_b32 s12, s19, s22
	s_delay_alu instid0(SALU_CYCLE_1) | instskip(SKIP_4) | instid1(SALU_CYCLE_1)
	s_cmp_lg_u32 s12, 0
	s_cselect_b32 s12, s30, s28
	s_cselect_b32 s19, s31, s29
	s_cmp_lg_u32 s11, 0
	s_sub_co_ci_u32 s11, s23, s25
	s_cmp_ge_u32 s11, s17
	s_cselect_b32 s22, -1, 0
	s_cmp_ge_u32 s7, s16
	s_cselect_b32 s7, -1, 0
	s_cmp_eq_u32 s11, s17
	s_cselect_b32 s7, s7, s22
	s_delay_alu instid0(SALU_CYCLE_1) | instskip(SKIP_3) | instid1(SALU_CYCLE_1)
	s_cmp_lg_u32 s7, 0
	s_cselect_b32 s17, s19, s27
	s_cselect_b32 s16, s12, s26
	s_xor_b64 s[14:15], s[20:21], s[14:15]
	s_xor_b64 s[16:17], s[16:17], s[14:15]
	s_delay_alu instid0(SALU_CYCLE_1)
	s_sub_nc_u64 s[14:15], s[16:17], s[14:15]
	s_load_b32 s15, s[0:1], 0x44
	s_and_not1_b32 vcc_lo, exec_lo, s13
	s_cbranch_vccnz .LBB6_3
.LBB6_2:
	v_cvt_f32_u32_e32 v1, s10
	s_sub_co_i32 s11, 0, s10
	s_delay_alu instid0(VALU_DEP_1) | instskip(SKIP_1) | instid1(TRANS32_DEP_1)
	v_rcp_iflag_f32_e32 v1, v1
	v_nop
	v_mul_f32_e32 v1, 0x4f7ffffe, v1
	s_delay_alu instid0(VALU_DEP_1) | instskip(NEXT) | instid1(VALU_DEP_1)
	v_cvt_u32_f32_e32 v1, v1
	v_readfirstlane_b32 s7, v1
	s_mul_i32 s11, s11, s7
	s_delay_alu instid0(SALU_CYCLE_1) | instskip(NEXT) | instid1(SALU_CYCLE_1)
	s_mul_hi_u32 s11, s7, s11
	s_add_co_i32 s7, s7, s11
	s_delay_alu instid0(SALU_CYCLE_1) | instskip(NEXT) | instid1(SALU_CYCLE_1)
	s_mul_hi_u32 s7, s2, s7
	s_mul_i32 s11, s7, s10
	s_add_co_i32 s12, s7, 1
	s_sub_co_i32 s11, s2, s11
	s_delay_alu instid0(SALU_CYCLE_1)
	s_sub_co_i32 s13, s11, s10
	s_cmp_ge_u32 s11, s10
	s_cselect_b32 s7, s12, s7
	s_cselect_b32 s11, s13, s11
	s_add_co_i32 s12, s7, 1
	s_cmp_ge_u32 s11, s10
	s_cselect_b32 s14, s12, s7
.LBB6_3:
	s_bfe_u32 s7, ttmp6, 0x40010
	s_bfe_u32 s10, ttmp6, 0x40004
	s_add_co_i32 s7, s7, 1
	s_wait_kmcnt 0x0
	s_lshr_b32 s13, s15, 16
	s_mul_i32 s7, ttmp7, s7
	v_bfe_u32 v1, v0, 10, 10
	s_add_co_i32 s10, s10, s7
	s_cmp_eq_u32 s18, 0
	s_mov_b32 s12, 0
	s_cselect_b32 s7, ttmp7, s10
	s_delay_alu instid0(SALU_CYCLE_1) | instskip(SKIP_1) | instid1(VALU_DEP_1)
	v_mad_u32 v10, s7, s13, v1
	s_mov_b32 s7, exec_lo
	v_cmpx_gt_i32_e64 s8, v10
	s_cbranch_execz .LBB6_15
; %bb.4:
	s_clause 0x2
	s_load_b128 s[16:19], s[0:1], 0x0
	s_load_b64 s[10:11], s[0:1], 0x10
	s_load_b32 s20, s[0:1], 0x3c
	s_mul_i32 s7, s5, s4
	s_wait_xcnt 0x0
	s_ashr_i32 s1, s8, 31
	s_mov_b32 s0, s8
	s_ashr_i32 s5, s9, 31
	s_mov_b32 s4, s9
	s_mul_i32 s6, s7, s6
	s_mul_u64 s[0:1], s[4:5], s[0:1]
	s_mul_i32 s4, s6, s14
	s_mul_u64 s[0:1], s[0:1], s[2:3]
	s_ashr_i32 s5, s4, 31
	v_and_b32_e32 v11, 0x3ff, v0
	v_mov_b32_e32 v1, 0
	s_lshl_b64 s[2:3], s[0:1], 1
	s_lshl_b64 s[4:5], s[4:5], 1
	;; [unrolled: 1-line block ×3, first 2 shown]
	v_cmp_gt_i32_e32 vcc_lo, s9, v11
	s_wait_kmcnt 0x0
	s_add_nc_u64 s[4:5], s[16:17], s[4:5]
	s_add_nc_u64 s[6:7], s[18:19], s[2:3]
	;; [unrolled: 1-line block ×3, first 2 shown]
	s_mul_i32 s3, s20, s13
	s_and_b32 s13, s15, 0xffff
	s_branch .LBB6_6
.LBB6_5:                                ;   in Loop: Header=BB6_6 Depth=1
	s_or_b32 exec_lo, exec_lo, s14
	v_add_nc_u32_e32 v10, s3, v10
	s_delay_alu instid0(VALU_DEP_1) | instskip(SKIP_1) | instid1(SALU_CYCLE_1)
	v_cmp_le_i32_e64 s0, s8, v10
	s_or_b32 s12, s0, s12
	s_and_not1_b32 exec_lo, exec_lo, s12
	s_cbranch_execz .LBB6_15
.LBB6_6:                                ; =>This Loop Header: Depth=1
                                        ;     Child Loop BB6_9 Depth 2
                                        ;       Child Loop BB6_11 Depth 3
	s_and_saveexec_b32 s14, vcc_lo
	s_cbranch_execz .LBB6_5
; %bb.7:                                ;   in Loop: Header=BB6_6 Depth=1
	v_mul_lo_u32 v4, v10, s9
	s_mov_b32 s15, 0
	s_delay_alu instid0(VALU_DEP_1) | instskip(NEXT) | instid1(VALU_DEP_1)
	v_dual_mov_b32 v0, v11 :: v_dual_ashrrev_i32 v5, 31, v4
	v_lshl_add_u64 v[2:3], v[4:5], 1, s[6:7]
	v_lshl_add_u64 v[4:5], v[4:5], 3, s[10:11]
	s_branch .LBB6_9
.LBB6_8:                                ;   in Loop: Header=BB6_9 Depth=2
	s_or_b32 exec_lo, exec_lo, s16
	v_add_nc_u32_e32 v0, s13, v0
	s_delay_alu instid0(VALU_DEP_1) | instskip(SKIP_1) | instid1(SALU_CYCLE_1)
	v_cmp_le_i32_e64 s0, s9, v0
	s_or_b32 s15, s0, s15
	s_and_not1_b32 exec_lo, exec_lo, s15
	s_cbranch_execz .LBB6_5
.LBB6_9:                                ;   Parent Loop BB6_6 Depth=1
                                        ; =>  This Loop Header: Depth=2
                                        ;       Child Loop BB6_11 Depth 3
	s_delay_alu instid0(VALU_DEP_1) | instskip(NEXT) | instid1(VALU_DEP_3)
	v_lshl_add_u64 v[6:7], v[0:1], 3, v[4:5]
	v_lshl_add_u64 v[16:17], v[0:1], 1, v[2:3]
	s_mov_b32 s16, 0
	v_mov_b32_e32 v15, v1
	global_load_b64 v[6:7], v[6:7], off
	s_wait_loadcnt 0x0
	v_lshl_add_u64 v[6:7], v[6:7], 1, s[4:5]
	s_delay_alu instid0(VALU_DEP_1) | instskip(NEXT) | instid1(VALU_DEP_1)
	v_and_b32_e32 v14, 2, v6
	v_sub_nc_u64_e32 v[8:9], 0, v[14:15]
	v_cmp_eq_u64_e64 s0, 0, v[14:15]
	v_cmp_ne_u32_e64 s1, 0, v14
	s_delay_alu instid0(VALU_DEP_3)
	v_add_nc_u64_e32 v[6:7], v[6:7], v[8:9]
	global_load_u16 v12, v[16:17], off
	global_load_b32 v9, v[6:7], off
	s_branch .LBB6_11
.LBB6_10:                               ;   in Loop: Header=BB6_11 Depth=3
	s_or_b32 exec_lo, exec_lo, s2
	global_atomic_cmpswap_b32 v8, v[6:7], v[8:9], off th:TH_ATOMIC_RETURN scope:SCOPE_DEV
	s_wait_loadcnt 0x0
	v_cmp_eq_u32_e64 s2, v9, v8
	v_mov_b32_e32 v9, v8
	s_or_b32 s16, s2, s16
	s_delay_alu instid0(SALU_CYCLE_1)
	s_and_not1_b32 exec_lo, exec_lo, s16
	s_cbranch_execz .LBB6_8
.LBB6_11:                               ;   Parent Loop BB6_6 Depth=1
                                        ;     Parent Loop BB6_9 Depth=2
                                        ; =>    This Inner Loop Header: Depth=3
	s_wait_loadcnt 0x0
	v_lshrrev_b32_e32 v8, 16, v9
	s_delay_alu instid0(VALU_DEP_1) | instskip(NEXT) | instid1(VALU_DEP_1)
	v_cndmask_b32_e64 v8, v8, v9, s0
	v_add_f16_e32 v8, v12, v8
	s_delay_alu instid0(VALU_DEP_1) | instskip(SKIP_1) | instid1(SALU_CYCLE_1)
	v_and_b32_e32 v13, 0xffff, v8
	s_and_saveexec_b32 s2, s1
	s_xor_b32 s2, exec_lo, s2
; %bb.12:                               ;   in Loop: Header=BB6_11 Depth=3
	v_and_b32_e32 v8, 0xffff, v9
	s_delay_alu instid0(VALU_DEP_1)
	v_lshl_or_b32 v8, v13, 16, v8
                                        ; implicit-def: $vgpr13
; %bb.13:                               ;   in Loop: Header=BB6_11 Depth=3
	s_and_not1_saveexec_b32 s2, s2
	s_cbranch_execz .LBB6_10
; %bb.14:                               ;   in Loop: Header=BB6_11 Depth=3
	v_and_or_b32 v8, 0xffff0000, v9, v13
	s_branch .LBB6_10
.LBB6_15:
	s_endpgm
.LBB6_16:
                                        ; implicit-def: $sgpr14_sgpr15
	s_load_b32 s15, s[0:1], 0x44
	s_branch .LBB6_2
	.section	.rodata,"a",@progbits
	.p2align	6, 0x0
	.amdhsa_kernel _ZN2at6native12_GLOBAL__N_126atomicadaptivemaxgradinputIN3c104HalfEEEvPT_PKS5_PKliiiiiil
		.amdhsa_group_segment_fixed_size 0
		.amdhsa_private_segment_fixed_size 0
		.amdhsa_kernarg_size 312
		.amdhsa_user_sgpr_count 2
		.amdhsa_user_sgpr_dispatch_ptr 0
		.amdhsa_user_sgpr_queue_ptr 0
		.amdhsa_user_sgpr_kernarg_segment_ptr 1
		.amdhsa_user_sgpr_dispatch_id 0
		.amdhsa_user_sgpr_kernarg_preload_length 0
		.amdhsa_user_sgpr_kernarg_preload_offset 0
		.amdhsa_user_sgpr_private_segment_size 0
		.amdhsa_wavefront_size32 1
		.amdhsa_uses_dynamic_stack 0
		.amdhsa_enable_private_segment 0
		.amdhsa_system_sgpr_workgroup_id_x 1
		.amdhsa_system_sgpr_workgroup_id_y 1
		.amdhsa_system_sgpr_workgroup_id_z 0
		.amdhsa_system_sgpr_workgroup_info 0
		.amdhsa_system_vgpr_workitem_id 1
		.amdhsa_next_free_vgpr 18
		.amdhsa_next_free_sgpr 32
		.amdhsa_named_barrier_count 0
		.amdhsa_reserve_vcc 1
		.amdhsa_float_round_mode_32 0
		.amdhsa_float_round_mode_16_64 0
		.amdhsa_float_denorm_mode_32 3
		.amdhsa_float_denorm_mode_16_64 3
		.amdhsa_fp16_overflow 0
		.amdhsa_memory_ordered 1
		.amdhsa_forward_progress 1
		.amdhsa_inst_pref_size 11
		.amdhsa_round_robin_scheduling 0
		.amdhsa_exception_fp_ieee_invalid_op 0
		.amdhsa_exception_fp_denorm_src 0
		.amdhsa_exception_fp_ieee_div_zero 0
		.amdhsa_exception_fp_ieee_overflow 0
		.amdhsa_exception_fp_ieee_underflow 0
		.amdhsa_exception_fp_ieee_inexact 0
		.amdhsa_exception_int_div_zero 0
	.end_amdhsa_kernel
	.section	.text._ZN2at6native12_GLOBAL__N_126atomicadaptivemaxgradinputIN3c104HalfEEEvPT_PKS5_PKliiiiiil,"axG",@progbits,_ZN2at6native12_GLOBAL__N_126atomicadaptivemaxgradinputIN3c104HalfEEEvPT_PKS5_PKliiiiiil,comdat
.Lfunc_end6:
	.size	_ZN2at6native12_GLOBAL__N_126atomicadaptivemaxgradinputIN3c104HalfEEEvPT_PKS5_PKliiiiiil, .Lfunc_end6-_ZN2at6native12_GLOBAL__N_126atomicadaptivemaxgradinputIN3c104HalfEEEvPT_PKS5_PKliiiiiil
                                        ; -- End function
	.set _ZN2at6native12_GLOBAL__N_126atomicadaptivemaxgradinputIN3c104HalfEEEvPT_PKS5_PKliiiiiil.num_vgpr, 18
	.set _ZN2at6native12_GLOBAL__N_126atomicadaptivemaxgradinputIN3c104HalfEEEvPT_PKS5_PKliiiiiil.num_agpr, 0
	.set _ZN2at6native12_GLOBAL__N_126atomicadaptivemaxgradinputIN3c104HalfEEEvPT_PKS5_PKliiiiiil.numbered_sgpr, 32
	.set _ZN2at6native12_GLOBAL__N_126atomicadaptivemaxgradinputIN3c104HalfEEEvPT_PKS5_PKliiiiiil.num_named_barrier, 0
	.set _ZN2at6native12_GLOBAL__N_126atomicadaptivemaxgradinputIN3c104HalfEEEvPT_PKS5_PKliiiiiil.private_seg_size, 0
	.set _ZN2at6native12_GLOBAL__N_126atomicadaptivemaxgradinputIN3c104HalfEEEvPT_PKS5_PKliiiiiil.uses_vcc, 1
	.set _ZN2at6native12_GLOBAL__N_126atomicadaptivemaxgradinputIN3c104HalfEEEvPT_PKS5_PKliiiiiil.uses_flat_scratch, 0
	.set _ZN2at6native12_GLOBAL__N_126atomicadaptivemaxgradinputIN3c104HalfEEEvPT_PKS5_PKliiiiiil.has_dyn_sized_stack, 0
	.set _ZN2at6native12_GLOBAL__N_126atomicadaptivemaxgradinputIN3c104HalfEEEvPT_PKS5_PKliiiiiil.has_recursion, 0
	.set _ZN2at6native12_GLOBAL__N_126atomicadaptivemaxgradinputIN3c104HalfEEEvPT_PKS5_PKliiiiiil.has_indirect_call, 0
	.section	.AMDGPU.csdata,"",@progbits
; Kernel info:
; codeLenInByte = 1336
; TotalNumSgprs: 34
; NumVgprs: 18
; ScratchSize: 0
; MemoryBound: 0
; FloatMode: 240
; IeeeMode: 1
; LDSByteSize: 0 bytes/workgroup (compile time only)
; SGPRBlocks: 0
; VGPRBlocks: 1
; NumSGPRsForWavesPerEU: 34
; NumVGPRsForWavesPerEU: 18
; NamedBarCnt: 0
; Occupancy: 16
; WaveLimiterHint : 1
; COMPUTE_PGM_RSRC2:SCRATCH_EN: 0
; COMPUTE_PGM_RSRC2:USER_SGPR: 2
; COMPUTE_PGM_RSRC2:TRAP_HANDLER: 0
; COMPUTE_PGM_RSRC2:TGID_X_EN: 1
; COMPUTE_PGM_RSRC2:TGID_Y_EN: 1
; COMPUTE_PGM_RSRC2:TGID_Z_EN: 0
; COMPUTE_PGM_RSRC2:TIDIG_COMP_CNT: 1
	.section	.text._ZN2at6native12_GLOBAL__N_126atomicadaptivemaxgradinputIN3c108BFloat16EEEvPT_PKS5_PKliiiiiil,"axG",@progbits,_ZN2at6native12_GLOBAL__N_126atomicadaptivemaxgradinputIN3c108BFloat16EEEvPT_PKS5_PKliiiiiil,comdat
	.globl	_ZN2at6native12_GLOBAL__N_126atomicadaptivemaxgradinputIN3c108BFloat16EEEvPT_PKS5_PKliiiiiil ; -- Begin function _ZN2at6native12_GLOBAL__N_126atomicadaptivemaxgradinputIN3c108BFloat16EEEvPT_PKS5_PKliiiiiil
	.p2align	8
	.type	_ZN2at6native12_GLOBAL__N_126atomicadaptivemaxgradinputIN3c108BFloat16EEEvPT_PKS5_PKliiiiiil,@function
_ZN2at6native12_GLOBAL__N_126atomicadaptivemaxgradinputIN3c108BFloat16EEEvPT_PKS5_PKliiiiiil: ; @_ZN2at6native12_GLOBAL__N_126atomicadaptivemaxgradinputIN3c108BFloat16EEEvPT_PKS5_PKliiiiiil
; %bb.0:
	s_load_b256 s[4:11], s[0:1], 0x18
	s_bfe_u32 s2, ttmp6, 0x4000c
	s_and_b32 s3, ttmp6, 15
	s_add_co_i32 s2, s2, 1
	s_getreg_b32 s18, hwreg(HW_REG_IB_STS2, 6, 4)
	s_mul_i32 s2, ttmp9, s2
	s_mov_b32 s13, 0
	s_add_co_i32 s3, s3, s2
	s_cmp_eq_u32 s18, 0
	s_cselect_b32 s12, ttmp9, s3
	s_wait_kmcnt 0x0
	s_add_nc_u64 s[2:3], s[10:11], s[12:13]
	s_ashr_i32 s11, s7, 31
	s_mov_b32 s10, s7
	s_delay_alu instid0(SALU_CYCLE_1) | instskip(NEXT) | instid1(SALU_CYCLE_1)
	s_or_b64 s[14:15], s[2:3], s[10:11]
	s_and_b64 s[14:15], s[14:15], 0xffffffff00000000
	s_delay_alu instid0(SALU_CYCLE_1)
	s_cmp_lg_u64 s[14:15], 0
	s_cbranch_scc0 .LBB7_12
; %bb.1:
	s_ashr_i32 s14, s11, 31
	s_delay_alu instid0(SALU_CYCLE_1) | instskip(NEXT) | instid1(SALU_CYCLE_1)
	s_mov_b32 s15, s14
	s_add_nc_u64 s[16:17], s[10:11], s[14:15]
	s_delay_alu instid0(SALU_CYCLE_1) | instskip(NEXT) | instid1(SALU_CYCLE_1)
	s_xor_b64 s[16:17], s[16:17], s[14:15]
	s_cvt_f32_u32 s7, s16
	s_cvt_f32_u32 s11, s17
	s_sub_nc_u64 s[22:23], 0, s[16:17]
	s_delay_alu instid0(SALU_CYCLE_2) | instskip(NEXT) | instid1(SALU_CYCLE_3)
	s_fmamk_f32 s7, s11, 0x4f800000, s7
	v_s_rcp_f32 s7, s7
	s_delay_alu instid0(TRANS32_DEP_1) | instskip(NEXT) | instid1(SALU_CYCLE_3)
	s_mul_f32 s7, s7, 0x5f7ffffc
	s_mul_f32 s11, s7, 0x2f800000
	s_delay_alu instid0(SALU_CYCLE_3) | instskip(NEXT) | instid1(SALU_CYCLE_3)
	s_trunc_f32 s11, s11
	s_fmamk_f32 s7, s11, 0xcf800000, s7
	s_cvt_u32_f32 s21, s11
	s_delay_alu instid0(SALU_CYCLE_2) | instskip(NEXT) | instid1(SALU_CYCLE_3)
	s_cvt_u32_f32 s20, s7
	s_mul_u64 s[24:25], s[22:23], s[20:21]
	s_delay_alu instid0(SALU_CYCLE_1)
	s_mul_hi_u32 s27, s20, s25
	s_mul_i32 s26, s20, s25
	s_mul_hi_u32 s12, s20, s24
	s_mul_i32 s11, s21, s24
	s_add_nc_u64 s[26:27], s[12:13], s[26:27]
	s_mul_hi_u32 s7, s21, s24
	s_mul_hi_u32 s19, s21, s25
	s_add_co_u32 s11, s26, s11
	s_add_co_ci_u32 s12, s27, s7
	s_mul_i32 s24, s21, s25
	s_add_co_ci_u32 s25, s19, 0
	s_delay_alu instid0(SALU_CYCLE_1) | instskip(NEXT) | instid1(SALU_CYCLE_1)
	s_add_nc_u64 s[24:25], s[12:13], s[24:25]
	s_add_co_u32 s20, s20, s24
	s_cselect_b32 s7, -1, 0
	s_delay_alu instid0(SALU_CYCLE_1) | instskip(SKIP_1) | instid1(SALU_CYCLE_1)
	s_cmp_lg_u32 s7, 0
	s_add_co_ci_u32 s21, s21, s25
	s_mul_u64 s[22:23], s[22:23], s[20:21]
	s_delay_alu instid0(SALU_CYCLE_1)
	s_mul_hi_u32 s25, s20, s23
	s_mul_i32 s24, s20, s23
	s_mul_hi_u32 s12, s20, s22
	s_mul_i32 s11, s21, s22
	s_add_nc_u64 s[24:25], s[12:13], s[24:25]
	s_mul_hi_u32 s7, s21, s22
	s_mul_hi_u32 s19, s21, s23
	s_add_co_u32 s11, s24, s11
	s_add_co_ci_u32 s12, s25, s7
	s_mul_i32 s22, s21, s23
	s_add_co_ci_u32 s23, s19, 0
	s_delay_alu instid0(SALU_CYCLE_1) | instskip(NEXT) | instid1(SALU_CYCLE_1)
	s_add_nc_u64 s[22:23], s[12:13], s[22:23]
	s_add_co_u32 s7, s20, s22
	s_cselect_b32 s11, -1, 0
	s_delay_alu instid0(SALU_CYCLE_1) | instskip(SKIP_2) | instid1(SALU_CYCLE_1)
	s_cmp_lg_u32 s11, 0
	s_add_co_ci_u32 s11, s21, s23
	s_ashr_i32 s20, s3, 31
	s_mov_b32 s21, s20
	s_delay_alu instid0(SALU_CYCLE_1) | instskip(NEXT) | instid1(SALU_CYCLE_1)
	s_add_nc_u64 s[22:23], s[2:3], s[20:21]
	s_xor_b64 s[22:23], s[22:23], s[20:21]
	s_delay_alu instid0(SALU_CYCLE_1)
	s_mul_hi_u32 s25, s22, s11
	s_mul_i32 s24, s22, s11
	s_mul_hi_u32 s12, s22, s7
	s_mul_hi_u32 s27, s23, s7
	s_mul_i32 s7, s23, s7
	s_add_nc_u64 s[24:25], s[12:13], s[24:25]
	s_mul_hi_u32 s19, s23, s11
	s_add_co_u32 s7, s24, s7
	s_add_co_ci_u32 s12, s25, s27
	s_mul_i32 s26, s23, s11
	s_add_co_ci_u32 s27, s19, 0
	s_delay_alu instid0(SALU_CYCLE_1) | instskip(NEXT) | instid1(SALU_CYCLE_1)
	s_add_nc_u64 s[24:25], s[12:13], s[26:27]
	s_and_b64 s[26:27], s[24:25], 0xffffffff00000000
	s_delay_alu instid0(SALU_CYCLE_1) | instskip(NEXT) | instid1(SALU_CYCLE_1)
	s_or_b32 s26, s26, s24
	s_mul_u64 s[24:25], s[16:17], s[26:27]
	s_add_nc_u64 s[28:29], s[26:27], 1
	s_sub_co_u32 s7, s22, s24
	s_cselect_b32 s11, -1, 0
	s_sub_co_i32 s12, s23, s25
	s_cmp_lg_u32 s11, 0
	s_add_nc_u64 s[30:31], s[26:27], 2
	s_sub_co_ci_u32 s12, s12, s17
	s_sub_co_u32 s19, s7, s16
	s_cselect_b32 s22, -1, 0
	s_delay_alu instid0(SALU_CYCLE_1) | instskip(SKIP_1) | instid1(SALU_CYCLE_1)
	s_cmp_lg_u32 s22, 0
	s_sub_co_ci_u32 s12, s12, 0
	s_cmp_ge_u32 s12, s17
	s_cselect_b32 s22, -1, 0
	s_cmp_ge_u32 s19, s16
	s_cselect_b32 s19, -1, 0
	s_cmp_eq_u32 s12, s17
	s_cselect_b32 s12, s19, s22
	s_delay_alu instid0(SALU_CYCLE_1) | instskip(SKIP_4) | instid1(SALU_CYCLE_1)
	s_cmp_lg_u32 s12, 0
	s_cselect_b32 s12, s30, s28
	s_cselect_b32 s19, s31, s29
	s_cmp_lg_u32 s11, 0
	s_sub_co_ci_u32 s11, s23, s25
	s_cmp_ge_u32 s11, s17
	s_cselect_b32 s22, -1, 0
	s_cmp_ge_u32 s7, s16
	s_cselect_b32 s7, -1, 0
	s_cmp_eq_u32 s11, s17
	s_cselect_b32 s7, s7, s22
	s_delay_alu instid0(SALU_CYCLE_1) | instskip(SKIP_3) | instid1(SALU_CYCLE_1)
	s_cmp_lg_u32 s7, 0
	s_cselect_b32 s17, s19, s27
	s_cselect_b32 s16, s12, s26
	s_xor_b64 s[14:15], s[20:21], s[14:15]
	s_xor_b64 s[16:17], s[16:17], s[14:15]
	s_delay_alu instid0(SALU_CYCLE_1)
	s_sub_nc_u64 s[14:15], s[16:17], s[14:15]
	s_load_b32 s11, s[0:1], 0x44
	s_and_not1_b32 vcc_lo, exec_lo, s13
	s_cbranch_vccnz .LBB7_3
.LBB7_2:
	v_cvt_f32_u32_e32 v1, s10
	s_sub_co_i32 s12, 0, s10
	s_delay_alu instid0(VALU_DEP_1) | instskip(SKIP_1) | instid1(TRANS32_DEP_1)
	v_rcp_iflag_f32_e32 v1, v1
	v_nop
	v_mul_f32_e32 v1, 0x4f7ffffe, v1
	s_delay_alu instid0(VALU_DEP_1) | instskip(NEXT) | instid1(VALU_DEP_1)
	v_cvt_u32_f32_e32 v1, v1
	v_readfirstlane_b32 s7, v1
	s_mul_i32 s12, s12, s7
	s_delay_alu instid0(SALU_CYCLE_1) | instskip(NEXT) | instid1(SALU_CYCLE_1)
	s_mul_hi_u32 s12, s7, s12
	s_add_co_i32 s7, s7, s12
	s_delay_alu instid0(SALU_CYCLE_1) | instskip(NEXT) | instid1(SALU_CYCLE_1)
	s_mul_hi_u32 s7, s2, s7
	s_mul_i32 s12, s7, s10
	s_add_co_i32 s13, s7, 1
	s_sub_co_i32 s12, s2, s12
	s_delay_alu instid0(SALU_CYCLE_1)
	s_sub_co_i32 s14, s12, s10
	s_cmp_ge_u32 s12, s10
	s_cselect_b32 s7, s13, s7
	s_cselect_b32 s12, s14, s12
	s_add_co_i32 s13, s7, 1
	s_cmp_ge_u32 s12, s10
	s_cselect_b32 s14, s13, s7
.LBB7_3:
	s_bfe_u32 s7, ttmp6, 0x40010
	s_bfe_u32 s10, ttmp6, 0x40004
	s_add_co_i32 s7, s7, 1
	s_wait_kmcnt 0x0
	s_lshr_b32 s12, s11, 16
	s_mul_i32 s7, ttmp7, s7
	v_bfe_u32 v1, v0, 10, 10
	s_add_co_i32 s10, s10, s7
	s_cmp_eq_u32 s18, 0
	s_cselect_b32 s7, ttmp7, s10
	s_mov_b32 s10, 0
	v_mad_u32 v10, s7, s12, v1
	s_mov_b32 s7, exec_lo
	s_delay_alu instid0(VALU_DEP_1)
	v_cmpx_gt_i32_e64 s8, v10
	s_cbranch_execz .LBB7_11
; %bb.4:
	s_clause 0x2
	s_load_b128 s[16:19], s[0:1], 0x0
	s_load_b64 s[20:21], s[0:1], 0x10
	s_load_b32 s13, s[0:1], 0x3c
	s_mul_i32 s7, s5, s4
	s_wait_xcnt 0x0
	s_ashr_i32 s1, s8, 31
	s_mov_b32 s0, s8
	s_ashr_i32 s5, s9, 31
	s_mov_b32 s4, s9
	s_mul_i32 s6, s7, s6
	s_mul_u64 s[0:1], s[4:5], s[0:1]
	s_mul_i32 s4, s6, s14
	s_mul_u64 s[0:1], s[0:1], s[2:3]
	s_ashr_i32 s5, s4, 31
	v_and_b32_e32 v11, 0x3ff, v0
	v_mov_b32_e32 v1, 0
	s_lshl_b64 s[6:7], s[0:1], 1
	s_lshl_b64 s[2:3], s[4:5], 1
	;; [unrolled: 1-line block ×3, first 2 shown]
	s_and_b32 s11, s11, 0xffff
	v_cmp_gt_i32_e32 vcc_lo, s9, v11
	s_wait_kmcnt 0x0
	s_add_nc_u64 s[2:3], s[16:17], s[2:3]
	s_add_nc_u64 s[4:5], s[18:19], s[6:7]
	;; [unrolled: 1-line block ×3, first 2 shown]
	s_mul_i32 s12, s13, s12
	s_branch .LBB7_6
.LBB7_5:                                ;   in Loop: Header=BB7_6 Depth=1
	s_or_b32 exec_lo, exec_lo, s13
	v_add_nc_u32_e32 v10, s12, v10
	s_delay_alu instid0(VALU_DEP_1) | instskip(SKIP_1) | instid1(SALU_CYCLE_1)
	v_cmp_le_i32_e64 s0, s8, v10
	s_or_b32 s10, s0, s10
	s_and_not1_b32 exec_lo, exec_lo, s10
	s_cbranch_execz .LBB7_11
.LBB7_6:                                ; =>This Loop Header: Depth=1
                                        ;     Child Loop BB7_8 Depth 2
                                        ;       Child Loop BB7_9 Depth 3
	s_and_saveexec_b32 s13, vcc_lo
	s_cbranch_execz .LBB7_5
; %bb.7:                                ;   in Loop: Header=BB7_6 Depth=1
	v_mul_lo_u32 v4, v10, s9
	s_mov_b32 s14, 0
	s_delay_alu instid0(VALU_DEP_1) | instskip(NEXT) | instid1(VALU_DEP_1)
	v_dual_mov_b32 v0, v11 :: v_dual_ashrrev_i32 v5, 31, v4
	v_lshl_add_u64 v[2:3], v[4:5], 1, s[4:5]
	v_lshl_add_u64 v[4:5], v[4:5], 3, s[6:7]
.LBB7_8:                                ;   Parent Loop BB7_6 Depth=1
                                        ; =>  This Loop Header: Depth=2
                                        ;       Child Loop BB7_9 Depth 3
	s_delay_alu instid0(VALU_DEP_1) | instskip(NEXT) | instid1(VALU_DEP_3)
	v_lshl_add_u64 v[6:7], v[0:1], 3, v[4:5]
	v_lshl_add_u64 v[14:15], v[0:1], 1, v[2:3]
	s_mov_b32 s15, 0
	v_mov_b32_e32 v13, v1
	global_load_b64 v[6:7], v[6:7], off
	s_wait_loadcnt 0x0
	v_lshl_add_u64 v[6:7], v[6:7], 1, s[2:3]
	s_delay_alu instid0(VALU_DEP_1) | instskip(NEXT) | instid1(VALU_DEP_1)
	v_and_b32_e32 v12, 2, v6
	v_sub_nc_u64_e32 v[8:9], 0, v[12:13]
	v_cmp_eq_u64_e64 s0, 0, v[12:13]
	s_delay_alu instid0(VALU_DEP_2)
	v_add_nc_u64_e32 v[6:7], v[6:7], v[8:9]
	global_load_u16 v8, v[14:15], off
	global_load_b32 v9, v[6:7], off
	s_wait_loadcnt 0x1
	v_lshlrev_b32_e32 v12, 16, v8
.LBB7_9:                                ;   Parent Loop BB7_6 Depth=1
                                        ;     Parent Loop BB7_8 Depth=2
                                        ; =>    This Inner Loop Header: Depth=3
	s_wait_loadcnt 0x0
	v_lshrrev_b32_e32 v8, 16, v9
	v_and_b32_e32 v13, 0xffff, v9
	s_delay_alu instid0(VALU_DEP_1) | instskip(NEXT) | instid1(VALU_DEP_1)
	v_cndmask_b32_e64 v8, v8, v13, s0
	v_lshlrev_b32_e32 v8, 16, v8
	s_delay_alu instid0(VALU_DEP_1) | instskip(NEXT) | instid1(VALU_DEP_1)
	v_add_f32_e32 v8, v12, v8
	v_bfe_u32 v14, v8, 16, 1
	v_cmp_o_f32_e64 s1, v8, v8
	s_delay_alu instid0(VALU_DEP_2) | instskip(NEXT) | instid1(VALU_DEP_1)
	v_add3_u32 v14, v8, v14, 0x7fff
	v_lshrrev_b32_e32 v14, 16, v14
	s_delay_alu instid0(VALU_DEP_1) | instskip(NEXT) | instid1(VALU_DEP_1)
	v_cndmask_b32_e64 v8, 0x7fc0, v14, s1
	v_lshl_or_b32 v13, v8, 16, v13
	v_and_or_b32 v8, 0xffff0000, v9, v8
	s_delay_alu instid0(VALU_DEP_1)
	v_cndmask_b32_e64 v8, v13, v8, s0
	global_atomic_cmpswap_b32 v8, v[6:7], v[8:9], off th:TH_ATOMIC_RETURN scope:SCOPE_DEV
	s_wait_loadcnt 0x0
	v_cmp_eq_u32_e64 s1, v9, v8
	v_mov_b32_e32 v9, v8
	s_or_b32 s15, s1, s15
	s_delay_alu instid0(SALU_CYCLE_1)
	s_and_not1_b32 exec_lo, exec_lo, s15
	s_cbranch_execnz .LBB7_9
; %bb.10:                               ;   in Loop: Header=BB7_8 Depth=2
	s_or_b32 exec_lo, exec_lo, s15
	v_add_nc_u32_e32 v0, s11, v0
	s_delay_alu instid0(VALU_DEP_1) | instskip(SKIP_1) | instid1(SALU_CYCLE_1)
	v_cmp_le_i32_e64 s0, s9, v0
	s_or_b32 s14, s0, s14
	s_and_not1_b32 exec_lo, exec_lo, s14
	s_cbranch_execnz .LBB7_8
	s_branch .LBB7_5
.LBB7_11:
	s_endpgm
.LBB7_12:
                                        ; implicit-def: $sgpr14_sgpr15
	s_load_b32 s11, s[0:1], 0x44
	s_branch .LBB7_2
	.section	.rodata,"a",@progbits
	.p2align	6, 0x0
	.amdhsa_kernel _ZN2at6native12_GLOBAL__N_126atomicadaptivemaxgradinputIN3c108BFloat16EEEvPT_PKS5_PKliiiiiil
		.amdhsa_group_segment_fixed_size 0
		.amdhsa_private_segment_fixed_size 0
		.amdhsa_kernarg_size 312
		.amdhsa_user_sgpr_count 2
		.amdhsa_user_sgpr_dispatch_ptr 0
		.amdhsa_user_sgpr_queue_ptr 0
		.amdhsa_user_sgpr_kernarg_segment_ptr 1
		.amdhsa_user_sgpr_dispatch_id 0
		.amdhsa_user_sgpr_kernarg_preload_length 0
		.amdhsa_user_sgpr_kernarg_preload_offset 0
		.amdhsa_user_sgpr_private_segment_size 0
		.amdhsa_wavefront_size32 1
		.amdhsa_uses_dynamic_stack 0
		.amdhsa_enable_private_segment 0
		.amdhsa_system_sgpr_workgroup_id_x 1
		.amdhsa_system_sgpr_workgroup_id_y 1
		.amdhsa_system_sgpr_workgroup_id_z 0
		.amdhsa_system_sgpr_workgroup_info 0
		.amdhsa_system_vgpr_workitem_id 1
		.amdhsa_next_free_vgpr 16
		.amdhsa_next_free_sgpr 32
		.amdhsa_named_barrier_count 0
		.amdhsa_reserve_vcc 1
		.amdhsa_float_round_mode_32 0
		.amdhsa_float_round_mode_16_64 0
		.amdhsa_float_denorm_mode_32 3
		.amdhsa_float_denorm_mode_16_64 3
		.amdhsa_fp16_overflow 0
		.amdhsa_memory_ordered 1
		.amdhsa_forward_progress 1
		.amdhsa_inst_pref_size 11
		.amdhsa_round_robin_scheduling 0
		.amdhsa_exception_fp_ieee_invalid_op 0
		.amdhsa_exception_fp_denorm_src 0
		.amdhsa_exception_fp_ieee_div_zero 0
		.amdhsa_exception_fp_ieee_overflow 0
		.amdhsa_exception_fp_ieee_underflow 0
		.amdhsa_exception_fp_ieee_inexact 0
		.amdhsa_exception_int_div_zero 0
	.end_amdhsa_kernel
	.section	.text._ZN2at6native12_GLOBAL__N_126atomicadaptivemaxgradinputIN3c108BFloat16EEEvPT_PKS5_PKliiiiiil,"axG",@progbits,_ZN2at6native12_GLOBAL__N_126atomicadaptivemaxgradinputIN3c108BFloat16EEEvPT_PKS5_PKliiiiiil,comdat
.Lfunc_end7:
	.size	_ZN2at6native12_GLOBAL__N_126atomicadaptivemaxgradinputIN3c108BFloat16EEEvPT_PKS5_PKliiiiiil, .Lfunc_end7-_ZN2at6native12_GLOBAL__N_126atomicadaptivemaxgradinputIN3c108BFloat16EEEvPT_PKS5_PKliiiiiil
                                        ; -- End function
	.set _ZN2at6native12_GLOBAL__N_126atomicadaptivemaxgradinputIN3c108BFloat16EEEvPT_PKS5_PKliiiiiil.num_vgpr, 16
	.set _ZN2at6native12_GLOBAL__N_126atomicadaptivemaxgradinputIN3c108BFloat16EEEvPT_PKS5_PKliiiiiil.num_agpr, 0
	.set _ZN2at6native12_GLOBAL__N_126atomicadaptivemaxgradinputIN3c108BFloat16EEEvPT_PKS5_PKliiiiiil.numbered_sgpr, 32
	.set _ZN2at6native12_GLOBAL__N_126atomicadaptivemaxgradinputIN3c108BFloat16EEEvPT_PKS5_PKliiiiiil.num_named_barrier, 0
	.set _ZN2at6native12_GLOBAL__N_126atomicadaptivemaxgradinputIN3c108BFloat16EEEvPT_PKS5_PKliiiiiil.private_seg_size, 0
	.set _ZN2at6native12_GLOBAL__N_126atomicadaptivemaxgradinputIN3c108BFloat16EEEvPT_PKS5_PKliiiiiil.uses_vcc, 1
	.set _ZN2at6native12_GLOBAL__N_126atomicadaptivemaxgradinputIN3c108BFloat16EEEvPT_PKS5_PKliiiiiil.uses_flat_scratch, 0
	.set _ZN2at6native12_GLOBAL__N_126atomicadaptivemaxgradinputIN3c108BFloat16EEEvPT_PKS5_PKliiiiiil.has_dyn_sized_stack, 0
	.set _ZN2at6native12_GLOBAL__N_126atomicadaptivemaxgradinputIN3c108BFloat16EEEvPT_PKS5_PKliiiiiil.has_recursion, 0
	.set _ZN2at6native12_GLOBAL__N_126atomicadaptivemaxgradinputIN3c108BFloat16EEEvPT_PKS5_PKliiiiiil.has_indirect_call, 0
	.section	.AMDGPU.csdata,"",@progbits
; Kernel info:
; codeLenInByte = 1364
; TotalNumSgprs: 34
; NumVgprs: 16
; ScratchSize: 0
; MemoryBound: 0
; FloatMode: 240
; IeeeMode: 1
; LDSByteSize: 0 bytes/workgroup (compile time only)
; SGPRBlocks: 0
; VGPRBlocks: 0
; NumSGPRsForWavesPerEU: 34
; NumVGPRsForWavesPerEU: 16
; NamedBarCnt: 0
; Occupancy: 16
; WaveLimiterHint : 1
; COMPUTE_PGM_RSRC2:SCRATCH_EN: 0
; COMPUTE_PGM_RSRC2:USER_SGPR: 2
; COMPUTE_PGM_RSRC2:TRAP_HANDLER: 0
; COMPUTE_PGM_RSRC2:TGID_X_EN: 1
; COMPUTE_PGM_RSRC2:TGID_Y_EN: 1
; COMPUTE_PGM_RSRC2:TGID_Z_EN: 0
; COMPUTE_PGM_RSRC2:TIDIG_COMP_CNT: 1
	.section	.text._ZN2at6native12_GLOBAL__N_120adaptivemaxgradinputIdEEvPT_PKS3_PKliiiiiil,"axG",@progbits,_ZN2at6native12_GLOBAL__N_120adaptivemaxgradinputIdEEvPT_PKS3_PKliiiiiil,comdat
	.globl	_ZN2at6native12_GLOBAL__N_120adaptivemaxgradinputIdEEvPT_PKS3_PKliiiiiil ; -- Begin function _ZN2at6native12_GLOBAL__N_120adaptivemaxgradinputIdEEvPT_PKS3_PKliiiiiil
	.p2align	8
	.type	_ZN2at6native12_GLOBAL__N_120adaptivemaxgradinputIdEEvPT_PKS3_PKliiiiiil,@function
_ZN2at6native12_GLOBAL__N_120adaptivemaxgradinputIdEEvPT_PKS3_PKliiiiiil: ; @_ZN2at6native12_GLOBAL__N_120adaptivemaxgradinputIdEEvPT_PKS3_PKliiiiiil
; %bb.0:
	s_load_b256 s[4:11], s[0:1], 0x18
	s_bfe_u32 s2, ttmp6, 0x4000c
	s_and_b32 s3, ttmp6, 15
	s_add_co_i32 s2, s2, 1
	s_getreg_b32 s18, hwreg(HW_REG_IB_STS2, 6, 4)
	s_mul_i32 s2, ttmp9, s2
	s_mov_b32 s13, 0
	s_add_co_i32 s3, s3, s2
	s_cmp_eq_u32 s18, 0
	s_cselect_b32 s12, ttmp9, s3
	s_wait_kmcnt 0x0
	s_add_nc_u64 s[2:3], s[10:11], s[12:13]
	s_ashr_i32 s11, s7, 31
	s_mov_b32 s10, s7
	s_delay_alu instid0(SALU_CYCLE_1) | instskip(NEXT) | instid1(SALU_CYCLE_1)
	s_or_b64 s[14:15], s[2:3], s[10:11]
	s_and_b64 s[14:15], s[14:15], 0xffffffff00000000
	s_delay_alu instid0(SALU_CYCLE_1)
	s_cmp_lg_u64 s[14:15], 0
	s_cbranch_scc0 .LBB8_10
; %bb.1:
	s_ashr_i32 s14, s11, 31
	s_delay_alu instid0(SALU_CYCLE_1) | instskip(NEXT) | instid1(SALU_CYCLE_1)
	s_mov_b32 s15, s14
	s_add_nc_u64 s[16:17], s[10:11], s[14:15]
	s_delay_alu instid0(SALU_CYCLE_1) | instskip(NEXT) | instid1(SALU_CYCLE_1)
	s_xor_b64 s[16:17], s[16:17], s[14:15]
	s_cvt_f32_u32 s7, s16
	s_cvt_f32_u32 s11, s17
	s_sub_nc_u64 s[22:23], 0, s[16:17]
	s_delay_alu instid0(SALU_CYCLE_2) | instskip(NEXT) | instid1(SALU_CYCLE_3)
	s_fmamk_f32 s7, s11, 0x4f800000, s7
	v_s_rcp_f32 s7, s7
	s_delay_alu instid0(TRANS32_DEP_1) | instskip(NEXT) | instid1(SALU_CYCLE_3)
	s_mul_f32 s7, s7, 0x5f7ffffc
	s_mul_f32 s11, s7, 0x2f800000
	s_delay_alu instid0(SALU_CYCLE_3) | instskip(NEXT) | instid1(SALU_CYCLE_3)
	s_trunc_f32 s11, s11
	s_fmamk_f32 s7, s11, 0xcf800000, s7
	s_cvt_u32_f32 s21, s11
	s_delay_alu instid0(SALU_CYCLE_2) | instskip(NEXT) | instid1(SALU_CYCLE_3)
	s_cvt_u32_f32 s20, s7
	s_mul_u64 s[24:25], s[22:23], s[20:21]
	s_delay_alu instid0(SALU_CYCLE_1)
	s_mul_hi_u32 s27, s20, s25
	s_mul_i32 s26, s20, s25
	s_mul_hi_u32 s12, s20, s24
	s_mul_i32 s11, s21, s24
	s_add_nc_u64 s[26:27], s[12:13], s[26:27]
	s_mul_hi_u32 s7, s21, s24
	s_mul_hi_u32 s19, s21, s25
	s_add_co_u32 s11, s26, s11
	s_add_co_ci_u32 s12, s27, s7
	s_mul_i32 s24, s21, s25
	s_add_co_ci_u32 s25, s19, 0
	s_delay_alu instid0(SALU_CYCLE_1) | instskip(NEXT) | instid1(SALU_CYCLE_1)
	s_add_nc_u64 s[24:25], s[12:13], s[24:25]
	s_add_co_u32 s20, s20, s24
	s_cselect_b32 s7, -1, 0
	s_delay_alu instid0(SALU_CYCLE_1) | instskip(SKIP_1) | instid1(SALU_CYCLE_1)
	s_cmp_lg_u32 s7, 0
	s_add_co_ci_u32 s21, s21, s25
	s_mul_u64 s[22:23], s[22:23], s[20:21]
	s_delay_alu instid0(SALU_CYCLE_1)
	s_mul_hi_u32 s25, s20, s23
	s_mul_i32 s24, s20, s23
	s_mul_hi_u32 s12, s20, s22
	s_mul_i32 s11, s21, s22
	s_add_nc_u64 s[24:25], s[12:13], s[24:25]
	s_mul_hi_u32 s7, s21, s22
	s_mul_hi_u32 s19, s21, s23
	s_add_co_u32 s11, s24, s11
	s_add_co_ci_u32 s12, s25, s7
	s_mul_i32 s22, s21, s23
	s_add_co_ci_u32 s23, s19, 0
	s_delay_alu instid0(SALU_CYCLE_1) | instskip(NEXT) | instid1(SALU_CYCLE_1)
	s_add_nc_u64 s[22:23], s[12:13], s[22:23]
	s_add_co_u32 s7, s20, s22
	s_cselect_b32 s11, -1, 0
	s_delay_alu instid0(SALU_CYCLE_1) | instskip(SKIP_2) | instid1(SALU_CYCLE_1)
	s_cmp_lg_u32 s11, 0
	s_add_co_ci_u32 s11, s21, s23
	s_ashr_i32 s20, s3, 31
	s_mov_b32 s21, s20
	s_delay_alu instid0(SALU_CYCLE_1) | instskip(NEXT) | instid1(SALU_CYCLE_1)
	s_add_nc_u64 s[22:23], s[2:3], s[20:21]
	s_xor_b64 s[22:23], s[22:23], s[20:21]
	s_delay_alu instid0(SALU_CYCLE_1)
	s_mul_hi_u32 s25, s22, s11
	s_mul_i32 s24, s22, s11
	s_mul_hi_u32 s12, s22, s7
	s_mul_hi_u32 s27, s23, s7
	s_mul_i32 s7, s23, s7
	s_add_nc_u64 s[24:25], s[12:13], s[24:25]
	s_mul_hi_u32 s19, s23, s11
	s_add_co_u32 s7, s24, s7
	s_add_co_ci_u32 s12, s25, s27
	s_mul_i32 s26, s23, s11
	s_add_co_ci_u32 s27, s19, 0
	s_delay_alu instid0(SALU_CYCLE_1) | instskip(NEXT) | instid1(SALU_CYCLE_1)
	s_add_nc_u64 s[24:25], s[12:13], s[26:27]
	s_and_b64 s[26:27], s[24:25], 0xffffffff00000000
	s_delay_alu instid0(SALU_CYCLE_1) | instskip(NEXT) | instid1(SALU_CYCLE_1)
	s_or_b32 s26, s26, s24
	s_mul_u64 s[24:25], s[16:17], s[26:27]
	s_add_nc_u64 s[28:29], s[26:27], 1
	s_sub_co_u32 s7, s22, s24
	s_cselect_b32 s11, -1, 0
	s_sub_co_i32 s12, s23, s25
	s_cmp_lg_u32 s11, 0
	s_add_nc_u64 s[30:31], s[26:27], 2
	s_sub_co_ci_u32 s12, s12, s17
	s_sub_co_u32 s19, s7, s16
	s_cselect_b32 s22, -1, 0
	s_delay_alu instid0(SALU_CYCLE_1) | instskip(SKIP_1) | instid1(SALU_CYCLE_1)
	s_cmp_lg_u32 s22, 0
	s_sub_co_ci_u32 s12, s12, 0
	s_cmp_ge_u32 s12, s17
	s_cselect_b32 s22, -1, 0
	s_cmp_ge_u32 s19, s16
	s_cselect_b32 s19, -1, 0
	s_cmp_eq_u32 s12, s17
	s_cselect_b32 s12, s19, s22
	s_delay_alu instid0(SALU_CYCLE_1) | instskip(SKIP_4) | instid1(SALU_CYCLE_1)
	s_cmp_lg_u32 s12, 0
	s_cselect_b32 s12, s30, s28
	s_cselect_b32 s19, s31, s29
	s_cmp_lg_u32 s11, 0
	s_sub_co_ci_u32 s11, s23, s25
	s_cmp_ge_u32 s11, s17
	s_cselect_b32 s22, -1, 0
	s_cmp_ge_u32 s7, s16
	s_cselect_b32 s7, -1, 0
	s_cmp_eq_u32 s11, s17
	s_cselect_b32 s7, s7, s22
	s_delay_alu instid0(SALU_CYCLE_1) | instskip(SKIP_3) | instid1(SALU_CYCLE_1)
	s_cmp_lg_u32 s7, 0
	s_cselect_b32 s17, s19, s27
	s_cselect_b32 s16, s12, s26
	s_xor_b64 s[14:15], s[20:21], s[14:15]
	s_xor_b64 s[16:17], s[16:17], s[14:15]
	s_delay_alu instid0(SALU_CYCLE_1)
	s_sub_nc_u64 s[16:17], s[16:17], s[14:15]
	s_load_b32 s17, s[0:1], 0x44
	s_and_not1_b32 vcc_lo, exec_lo, s13
	s_cbranch_vccnz .LBB8_3
.LBB8_2:
	v_cvt_f32_u32_e32 v1, s10
	s_sub_co_i32 s11, 0, s10
	s_delay_alu instid0(VALU_DEP_1) | instskip(SKIP_1) | instid1(TRANS32_DEP_1)
	v_rcp_iflag_f32_e32 v1, v1
	v_nop
	v_mul_f32_e32 v1, 0x4f7ffffe, v1
	s_delay_alu instid0(VALU_DEP_1) | instskip(NEXT) | instid1(VALU_DEP_1)
	v_cvt_u32_f32_e32 v1, v1
	v_readfirstlane_b32 s7, v1
	s_mul_i32 s11, s11, s7
	s_delay_alu instid0(SALU_CYCLE_1) | instskip(NEXT) | instid1(SALU_CYCLE_1)
	s_mul_hi_u32 s11, s7, s11
	s_add_co_i32 s7, s7, s11
	s_delay_alu instid0(SALU_CYCLE_1) | instskip(NEXT) | instid1(SALU_CYCLE_1)
	s_mul_hi_u32 s7, s2, s7
	s_mul_i32 s11, s7, s10
	s_add_co_i32 s12, s7, 1
	s_sub_co_i32 s11, s2, s11
	s_delay_alu instid0(SALU_CYCLE_1)
	s_sub_co_i32 s13, s11, s10
	s_cmp_ge_u32 s11, s10
	s_cselect_b32 s7, s12, s7
	s_cselect_b32 s11, s13, s11
	s_add_co_i32 s12, s7, 1
	s_cmp_ge_u32 s11, s10
	s_cselect_b32 s16, s12, s7
.LBB8_3:
	s_bfe_u32 s7, ttmp6, 0x40010
	s_bfe_u32 s10, ttmp6, 0x40004
	s_add_co_i32 s7, s7, 1
	s_wait_kmcnt 0x0
	s_lshr_b32 s19, s17, 16
	s_mul_i32 s7, ttmp7, s7
	v_bfe_u32 v1, v0, 10, 10
	s_add_co_i32 s10, s10, s7
	s_cmp_eq_u32 s18, 0
	s_cselect_b32 s7, ttmp7, s10
	s_mov_b32 s10, exec_lo
	v_mad_u32 v8, s7, s19, v1
	s_mov_b32 s7, 0
	s_delay_alu instid0(VALU_DEP_1)
	v_cmpx_gt_i32_e64 s8, v8
	s_cbranch_execz .LBB8_9
; %bb.4:
	s_clause 0x2
	s_load_b128 s[12:15], s[0:1], 0x0
	s_load_b32 s18, s[0:1], 0x3c
	s_load_b64 s[10:11], s[0:1], 0x10
	s_wait_xcnt 0x0
	s_mul_i32 s0, s5, s4
	v_and_b32_e32 v9, 0x3ff, v0
	v_mov_b32_e32 v0, 0
	s_mul_i32 s0, s0, s6
	s_ashr_i32 s5, s9, 31
	s_mul_i32 s16, s0, s16
	s_mov_b32 s4, s9
	s_and_b32 s1, s17, 0xffff
	v_mul_lo_u32 v2, s9, v8
	s_ashr_i32 s17, s16, 31
	v_dual_mov_b32 v5, v0 :: v_dual_lshlrev_b32 v4, 3, v9
	s_ashr_i32 s21, s8, 31
	s_mov_b32 s20, s8
	s_mul_u64 s[22:23], s[2:3], s[4:5]
	s_lshl_b64 s[2:3], s[16:17], 3
	s_lshl_b32 s6, s1, 3
	s_wait_kmcnt 0x0
	s_add_nc_u64 s[2:3], s[12:13], s[2:3]
	s_mul_u64 s[12:13], s[22:23], s[20:21]
	s_mul_i32 s4, s18, s19
	v_lshl_add_u64 v[4:5], s[12:13], 3, v[4:5]
	s_mul_i32 s5, s4, s9
	s_mov_b32 s12, s7
	v_cmp_gt_i32_e32 vcc_lo, s9, v9
	s_branch .LBB8_6
.LBB8_5:                                ;   in Loop: Header=BB8_6 Depth=1
	s_or_b32 exec_lo, exec_lo, s13
	v_dual_add_nc_u32 v8, s4, v8 :: v_dual_add_nc_u32 v2, s5, v2
	s_delay_alu instid0(VALU_DEP_1) | instskip(SKIP_1) | instid1(SALU_CYCLE_1)
	v_cmp_le_i32_e64 s0, s8, v8
	s_or_b32 s12, s0, s12
	s_and_not1_b32 exec_lo, exec_lo, s12
	s_cbranch_execz .LBB8_9
.LBB8_6:                                ; =>This Loop Header: Depth=1
                                        ;     Child Loop BB8_8 Depth 2
	s_and_saveexec_b32 s13, vcc_lo
	s_cbranch_execz .LBB8_5
; %bb.7:                                ;   in Loop: Header=BB8_6 Depth=1
	v_ashrrev_i32_e32 v3, 31, v2
	s_mov_b32 s16, 0
	s_delay_alu instid0(VALU_DEP_1)
	v_lshl_add_u64 v[6:7], v[2:3], 3, v[4:5]
	v_mov_b32_e32 v3, v9
.LBB8_8:                                ;   Parent Loop BB8_6 Depth=1
                                        ; =>  This Inner Loop Header: Depth=2
	s_delay_alu instid0(VALU_DEP_2) | instskip(SKIP_2) | instid1(VALU_DEP_4)
	v_add_nc_u64_e32 v[10:11], s[10:11], v[6:7]
	v_add_nc_u64_e32 v[12:13], s[14:15], v[6:7]
	;; [unrolled: 1-line block ×3, first 2 shown]
	v_add_nc_u32_e32 v3, s1, v3
	global_load_b32 v1, v[10:11], off
	v_cmp_le_i32_e64 s0, s9, v3
	s_or_b32 s16, s0, s16
	s_wait_loadcnt 0x0
	s_wait_xcnt 0x0
	v_ashrrev_i64 v[10:11], 29, v[0:1]
	s_delay_alu instid0(VALU_DEP_1)
	v_add_nc_u64_e32 v[10:11], s[2:3], v[10:11]
	global_load_b64 v[14:15], v[12:13], off
	global_load_b64 v[16:17], v[10:11], off
	s_wait_loadcnt 0x0
	s_wait_xcnt 0x1
	v_add_f64_e32 v[12:13], v[14:15], v[16:17]
	global_store_b64 v[10:11], v[12:13], off
	s_wait_xcnt 0x0
	s_and_not1_b32 exec_lo, exec_lo, s16
	s_cbranch_execnz .LBB8_8
	s_branch .LBB8_5
.LBB8_9:
	s_endpgm
.LBB8_10:
                                        ; implicit-def: $sgpr16_sgpr17
	s_load_b32 s17, s[0:1], 0x44
	s_branch .LBB8_2
	.section	.rodata,"a",@progbits
	.p2align	6, 0x0
	.amdhsa_kernel _ZN2at6native12_GLOBAL__N_120adaptivemaxgradinputIdEEvPT_PKS3_PKliiiiiil
		.amdhsa_group_segment_fixed_size 0
		.amdhsa_private_segment_fixed_size 0
		.amdhsa_kernarg_size 312
		.amdhsa_user_sgpr_count 2
		.amdhsa_user_sgpr_dispatch_ptr 0
		.amdhsa_user_sgpr_queue_ptr 0
		.amdhsa_user_sgpr_kernarg_segment_ptr 1
		.amdhsa_user_sgpr_dispatch_id 0
		.amdhsa_user_sgpr_kernarg_preload_length 0
		.amdhsa_user_sgpr_kernarg_preload_offset 0
		.amdhsa_user_sgpr_private_segment_size 0
		.amdhsa_wavefront_size32 1
		.amdhsa_uses_dynamic_stack 0
		.amdhsa_enable_private_segment 0
		.amdhsa_system_sgpr_workgroup_id_x 1
		.amdhsa_system_sgpr_workgroup_id_y 1
		.amdhsa_system_sgpr_workgroup_id_z 0
		.amdhsa_system_sgpr_workgroup_info 0
		.amdhsa_system_vgpr_workitem_id 1
		.amdhsa_next_free_vgpr 18
		.amdhsa_next_free_sgpr 32
		.amdhsa_named_barrier_count 0
		.amdhsa_reserve_vcc 1
		.amdhsa_float_round_mode_32 0
		.amdhsa_float_round_mode_16_64 0
		.amdhsa_float_denorm_mode_32 3
		.amdhsa_float_denorm_mode_16_64 3
		.amdhsa_fp16_overflow 0
		.amdhsa_memory_ordered 1
		.amdhsa_forward_progress 1
		.amdhsa_inst_pref_size 10
		.amdhsa_round_robin_scheduling 0
		.amdhsa_exception_fp_ieee_invalid_op 0
		.amdhsa_exception_fp_denorm_src 0
		.amdhsa_exception_fp_ieee_div_zero 0
		.amdhsa_exception_fp_ieee_overflow 0
		.amdhsa_exception_fp_ieee_underflow 0
		.amdhsa_exception_fp_ieee_inexact 0
		.amdhsa_exception_int_div_zero 0
	.end_amdhsa_kernel
	.section	.text._ZN2at6native12_GLOBAL__N_120adaptivemaxgradinputIdEEvPT_PKS3_PKliiiiiil,"axG",@progbits,_ZN2at6native12_GLOBAL__N_120adaptivemaxgradinputIdEEvPT_PKS3_PKliiiiiil,comdat
.Lfunc_end8:
	.size	_ZN2at6native12_GLOBAL__N_120adaptivemaxgradinputIdEEvPT_PKS3_PKliiiiiil, .Lfunc_end8-_ZN2at6native12_GLOBAL__N_120adaptivemaxgradinputIdEEvPT_PKS3_PKliiiiiil
                                        ; -- End function
	.set _ZN2at6native12_GLOBAL__N_120adaptivemaxgradinputIdEEvPT_PKS3_PKliiiiiil.num_vgpr, 18
	.set _ZN2at6native12_GLOBAL__N_120adaptivemaxgradinputIdEEvPT_PKS3_PKliiiiiil.num_agpr, 0
	.set _ZN2at6native12_GLOBAL__N_120adaptivemaxgradinputIdEEvPT_PKS3_PKliiiiiil.numbered_sgpr, 32
	.set _ZN2at6native12_GLOBAL__N_120adaptivemaxgradinputIdEEvPT_PKS3_PKliiiiiil.num_named_barrier, 0
	.set _ZN2at6native12_GLOBAL__N_120adaptivemaxgradinputIdEEvPT_PKS3_PKliiiiiil.private_seg_size, 0
	.set _ZN2at6native12_GLOBAL__N_120adaptivemaxgradinputIdEEvPT_PKS3_PKliiiiiil.uses_vcc, 1
	.set _ZN2at6native12_GLOBAL__N_120adaptivemaxgradinputIdEEvPT_PKS3_PKliiiiiil.uses_flat_scratch, 0
	.set _ZN2at6native12_GLOBAL__N_120adaptivemaxgradinputIdEEvPT_PKS3_PKliiiiiil.has_dyn_sized_stack, 0
	.set _ZN2at6native12_GLOBAL__N_120adaptivemaxgradinputIdEEvPT_PKS3_PKliiiiiil.has_recursion, 0
	.set _ZN2at6native12_GLOBAL__N_120adaptivemaxgradinputIdEEvPT_PKS3_PKliiiiiil.has_indirect_call, 0
	.section	.AMDGPU.csdata,"",@progbits
; Kernel info:
; codeLenInByte = 1192
; TotalNumSgprs: 34
; NumVgprs: 18
; ScratchSize: 0
; MemoryBound: 0
; FloatMode: 240
; IeeeMode: 1
; LDSByteSize: 0 bytes/workgroup (compile time only)
; SGPRBlocks: 0
; VGPRBlocks: 1
; NumSGPRsForWavesPerEU: 34
; NumVGPRsForWavesPerEU: 18
; NamedBarCnt: 0
; Occupancy: 16
; WaveLimiterHint : 1
; COMPUTE_PGM_RSRC2:SCRATCH_EN: 0
; COMPUTE_PGM_RSRC2:USER_SGPR: 2
; COMPUTE_PGM_RSRC2:TRAP_HANDLER: 0
; COMPUTE_PGM_RSRC2:TGID_X_EN: 1
; COMPUTE_PGM_RSRC2:TGID_Y_EN: 1
; COMPUTE_PGM_RSRC2:TGID_Z_EN: 0
; COMPUTE_PGM_RSRC2:TIDIG_COMP_CNT: 1
	.section	.text._ZN2at6native12_GLOBAL__N_120adaptivemaxgradinputIfEEvPT_PKS3_PKliiiiiil,"axG",@progbits,_ZN2at6native12_GLOBAL__N_120adaptivemaxgradinputIfEEvPT_PKS3_PKliiiiiil,comdat
	.globl	_ZN2at6native12_GLOBAL__N_120adaptivemaxgradinputIfEEvPT_PKS3_PKliiiiiil ; -- Begin function _ZN2at6native12_GLOBAL__N_120adaptivemaxgradinputIfEEvPT_PKS3_PKliiiiiil
	.p2align	8
	.type	_ZN2at6native12_GLOBAL__N_120adaptivemaxgradinputIfEEvPT_PKS3_PKliiiiiil,@function
_ZN2at6native12_GLOBAL__N_120adaptivemaxgradinputIfEEvPT_PKS3_PKliiiiiil: ; @_ZN2at6native12_GLOBAL__N_120adaptivemaxgradinputIfEEvPT_PKS3_PKliiiiiil
; %bb.0:
	s_load_b256 s[4:11], s[0:1], 0x18
	s_bfe_u32 s2, ttmp6, 0x4000c
	s_and_b32 s3, ttmp6, 15
	s_add_co_i32 s2, s2, 1
	s_getreg_b32 s18, hwreg(HW_REG_IB_STS2, 6, 4)
	s_mul_i32 s2, ttmp9, s2
	s_mov_b32 s13, 0
	s_add_co_i32 s3, s3, s2
	s_cmp_eq_u32 s18, 0
	s_cselect_b32 s12, ttmp9, s3
	s_wait_kmcnt 0x0
	s_add_nc_u64 s[2:3], s[10:11], s[12:13]
	s_ashr_i32 s11, s7, 31
	s_mov_b32 s10, s7
	s_delay_alu instid0(SALU_CYCLE_1) | instskip(NEXT) | instid1(SALU_CYCLE_1)
	s_or_b64 s[14:15], s[2:3], s[10:11]
	s_and_b64 s[14:15], s[14:15], 0xffffffff00000000
	s_delay_alu instid0(SALU_CYCLE_1)
	s_cmp_lg_u64 s[14:15], 0
	s_cbranch_scc0 .LBB9_10
; %bb.1:
	s_ashr_i32 s14, s11, 31
	s_delay_alu instid0(SALU_CYCLE_1) | instskip(NEXT) | instid1(SALU_CYCLE_1)
	s_mov_b32 s15, s14
	s_add_nc_u64 s[16:17], s[10:11], s[14:15]
	s_delay_alu instid0(SALU_CYCLE_1) | instskip(NEXT) | instid1(SALU_CYCLE_1)
	s_xor_b64 s[16:17], s[16:17], s[14:15]
	s_cvt_f32_u32 s7, s16
	s_cvt_f32_u32 s11, s17
	s_sub_nc_u64 s[22:23], 0, s[16:17]
	s_delay_alu instid0(SALU_CYCLE_2) | instskip(NEXT) | instid1(SALU_CYCLE_3)
	s_fmamk_f32 s7, s11, 0x4f800000, s7
	v_s_rcp_f32 s7, s7
	s_delay_alu instid0(TRANS32_DEP_1) | instskip(NEXT) | instid1(SALU_CYCLE_3)
	s_mul_f32 s7, s7, 0x5f7ffffc
	s_mul_f32 s11, s7, 0x2f800000
	s_delay_alu instid0(SALU_CYCLE_3) | instskip(NEXT) | instid1(SALU_CYCLE_3)
	s_trunc_f32 s11, s11
	s_fmamk_f32 s7, s11, 0xcf800000, s7
	s_cvt_u32_f32 s21, s11
	s_delay_alu instid0(SALU_CYCLE_2) | instskip(NEXT) | instid1(SALU_CYCLE_3)
	s_cvt_u32_f32 s20, s7
	s_mul_u64 s[24:25], s[22:23], s[20:21]
	s_delay_alu instid0(SALU_CYCLE_1)
	s_mul_hi_u32 s27, s20, s25
	s_mul_i32 s26, s20, s25
	s_mul_hi_u32 s12, s20, s24
	s_mul_i32 s11, s21, s24
	s_add_nc_u64 s[26:27], s[12:13], s[26:27]
	s_mul_hi_u32 s7, s21, s24
	s_mul_hi_u32 s19, s21, s25
	s_add_co_u32 s11, s26, s11
	s_add_co_ci_u32 s12, s27, s7
	s_mul_i32 s24, s21, s25
	s_add_co_ci_u32 s25, s19, 0
	s_delay_alu instid0(SALU_CYCLE_1) | instskip(NEXT) | instid1(SALU_CYCLE_1)
	s_add_nc_u64 s[24:25], s[12:13], s[24:25]
	s_add_co_u32 s20, s20, s24
	s_cselect_b32 s7, -1, 0
	s_delay_alu instid0(SALU_CYCLE_1) | instskip(SKIP_1) | instid1(SALU_CYCLE_1)
	s_cmp_lg_u32 s7, 0
	s_add_co_ci_u32 s21, s21, s25
	s_mul_u64 s[22:23], s[22:23], s[20:21]
	s_delay_alu instid0(SALU_CYCLE_1)
	s_mul_hi_u32 s25, s20, s23
	s_mul_i32 s24, s20, s23
	s_mul_hi_u32 s12, s20, s22
	s_mul_i32 s11, s21, s22
	s_add_nc_u64 s[24:25], s[12:13], s[24:25]
	s_mul_hi_u32 s7, s21, s22
	s_mul_hi_u32 s19, s21, s23
	s_add_co_u32 s11, s24, s11
	s_add_co_ci_u32 s12, s25, s7
	s_mul_i32 s22, s21, s23
	s_add_co_ci_u32 s23, s19, 0
	s_delay_alu instid0(SALU_CYCLE_1) | instskip(NEXT) | instid1(SALU_CYCLE_1)
	s_add_nc_u64 s[22:23], s[12:13], s[22:23]
	s_add_co_u32 s7, s20, s22
	s_cselect_b32 s11, -1, 0
	s_delay_alu instid0(SALU_CYCLE_1) | instskip(SKIP_2) | instid1(SALU_CYCLE_1)
	s_cmp_lg_u32 s11, 0
	s_add_co_ci_u32 s11, s21, s23
	s_ashr_i32 s20, s3, 31
	s_mov_b32 s21, s20
	s_delay_alu instid0(SALU_CYCLE_1) | instskip(NEXT) | instid1(SALU_CYCLE_1)
	s_add_nc_u64 s[22:23], s[2:3], s[20:21]
	s_xor_b64 s[22:23], s[22:23], s[20:21]
	s_delay_alu instid0(SALU_CYCLE_1)
	s_mul_hi_u32 s25, s22, s11
	s_mul_i32 s24, s22, s11
	s_mul_hi_u32 s12, s22, s7
	s_mul_hi_u32 s27, s23, s7
	s_mul_i32 s7, s23, s7
	s_add_nc_u64 s[24:25], s[12:13], s[24:25]
	s_mul_hi_u32 s19, s23, s11
	s_add_co_u32 s7, s24, s7
	s_add_co_ci_u32 s12, s25, s27
	s_mul_i32 s26, s23, s11
	s_add_co_ci_u32 s27, s19, 0
	s_delay_alu instid0(SALU_CYCLE_1) | instskip(NEXT) | instid1(SALU_CYCLE_1)
	s_add_nc_u64 s[24:25], s[12:13], s[26:27]
	s_and_b64 s[26:27], s[24:25], 0xffffffff00000000
	s_delay_alu instid0(SALU_CYCLE_1) | instskip(NEXT) | instid1(SALU_CYCLE_1)
	s_or_b32 s26, s26, s24
	s_mul_u64 s[24:25], s[16:17], s[26:27]
	s_add_nc_u64 s[28:29], s[26:27], 1
	s_sub_co_u32 s7, s22, s24
	s_cselect_b32 s11, -1, 0
	s_sub_co_i32 s12, s23, s25
	s_cmp_lg_u32 s11, 0
	s_add_nc_u64 s[30:31], s[26:27], 2
	s_sub_co_ci_u32 s12, s12, s17
	s_sub_co_u32 s19, s7, s16
	s_cselect_b32 s22, -1, 0
	s_delay_alu instid0(SALU_CYCLE_1) | instskip(SKIP_1) | instid1(SALU_CYCLE_1)
	s_cmp_lg_u32 s22, 0
	s_sub_co_ci_u32 s12, s12, 0
	s_cmp_ge_u32 s12, s17
	s_cselect_b32 s22, -1, 0
	s_cmp_ge_u32 s19, s16
	s_cselect_b32 s19, -1, 0
	s_cmp_eq_u32 s12, s17
	s_cselect_b32 s12, s19, s22
	s_delay_alu instid0(SALU_CYCLE_1) | instskip(SKIP_4) | instid1(SALU_CYCLE_1)
	s_cmp_lg_u32 s12, 0
	s_cselect_b32 s12, s30, s28
	s_cselect_b32 s19, s31, s29
	s_cmp_lg_u32 s11, 0
	s_sub_co_ci_u32 s11, s23, s25
	s_cmp_ge_u32 s11, s17
	s_cselect_b32 s22, -1, 0
	s_cmp_ge_u32 s7, s16
	s_cselect_b32 s7, -1, 0
	s_cmp_eq_u32 s11, s17
	s_cselect_b32 s7, s7, s22
	s_delay_alu instid0(SALU_CYCLE_1) | instskip(SKIP_3) | instid1(SALU_CYCLE_1)
	s_cmp_lg_u32 s7, 0
	s_cselect_b32 s17, s19, s27
	s_cselect_b32 s16, s12, s26
	s_xor_b64 s[14:15], s[20:21], s[14:15]
	s_xor_b64 s[16:17], s[16:17], s[14:15]
	s_delay_alu instid0(SALU_CYCLE_1)
	s_sub_nc_u64 s[16:17], s[16:17], s[14:15]
	s_load_b32 s11, s[0:1], 0x44
	s_and_not1_b32 vcc_lo, exec_lo, s13
	s_cbranch_vccnz .LBB9_3
.LBB9_2:
	v_cvt_f32_u32_e32 v1, s10
	s_sub_co_i32 s12, 0, s10
	s_delay_alu instid0(VALU_DEP_1) | instskip(SKIP_1) | instid1(TRANS32_DEP_1)
	v_rcp_iflag_f32_e32 v1, v1
	v_nop
	v_mul_f32_e32 v1, 0x4f7ffffe, v1
	s_delay_alu instid0(VALU_DEP_1) | instskip(NEXT) | instid1(VALU_DEP_1)
	v_cvt_u32_f32_e32 v1, v1
	v_readfirstlane_b32 s7, v1
	s_mul_i32 s12, s12, s7
	s_delay_alu instid0(SALU_CYCLE_1) | instskip(NEXT) | instid1(SALU_CYCLE_1)
	s_mul_hi_u32 s12, s7, s12
	s_add_co_i32 s7, s7, s12
	s_delay_alu instid0(SALU_CYCLE_1) | instskip(NEXT) | instid1(SALU_CYCLE_1)
	s_mul_hi_u32 s7, s2, s7
	s_mul_i32 s12, s7, s10
	s_add_co_i32 s13, s7, 1
	s_sub_co_i32 s12, s2, s12
	s_delay_alu instid0(SALU_CYCLE_1)
	s_sub_co_i32 s14, s12, s10
	s_cmp_ge_u32 s12, s10
	s_cselect_b32 s7, s13, s7
	s_cselect_b32 s12, s14, s12
	s_add_co_i32 s13, s7, 1
	s_cmp_ge_u32 s12, s10
	s_cselect_b32 s16, s13, s7
.LBB9_3:
	s_bfe_u32 s7, ttmp6, 0x40010
	s_bfe_u32 s12, ttmp6, 0x40004
	s_add_co_i32 s7, s7, 1
	s_wait_kmcnt 0x0
	s_lshr_b32 s10, s11, 16
	s_mul_i32 s7, ttmp7, s7
	v_bfe_u32 v1, v0, 10, 10
	s_add_co_i32 s12, s12, s7
	s_cmp_eq_u32 s18, 0
	s_cselect_b32 s7, ttmp7, s12
	s_mov_b32 s12, exec_lo
	v_mad_u32 v12, s7, s10, v1
	s_mov_b32 s7, 0
	s_delay_alu instid0(VALU_DEP_1)
	v_cmpx_gt_i32_e64 s8, v12
	s_cbranch_execz .LBB9_9
; %bb.4:
	s_clause 0x2
	s_load_b128 s[12:15], s[0:1], 0x0
	s_load_b32 s22, s[0:1], 0x3c
	s_load_b64 s[18:19], s[0:1], 0x10
	s_wait_xcnt 0x0
	s_mul_i32 s0, s5, s4
	s_ashr_i32 s21, s9, 31
	s_mov_b32 s20, s9
	v_and_b32_e32 v13, 0x3ff, v0
	v_mov_b32_e32 v0, 0
	s_mul_i32 s0, s0, s6
	s_ashr_i32 s5, s8, 31
	s_mov_b32 s4, s8
	s_mul_u64 s[2:3], s[2:3], s[20:21]
	s_mul_i32 s16, s0, s16
	s_mul_u64 s[4:5], s[2:3], s[4:5]
	s_ashr_i32 s17, s16, 31
	v_dual_mov_b32 v5, v0 :: v_dual_lshlrev_b32 v4, 2, v13
	v_dual_mov_b32 v7, v0 :: v_dual_lshlrev_b32 v6, 3, v13
	s_lshl_b64 s[2:3], s[16:17], 2
	s_lshl_b64 s[16:17], s[4:5], 2
	v_mul_lo_u32 v2, s9, v12
	s_lshl_b64 s[4:5], s[4:5], 3
	s_wait_kmcnt 0x0
	s_add_nc_u64 s[2:3], s[12:13], s[2:3]
	s_add_nc_u64 s[12:13], s[14:15], s[16:17]
	;; [unrolled: 1-line block ×3, first 2 shown]
	v_add_nc_u64_e32 v[4:5], s[12:13], v[4:5]
	v_add_nc_u64_e32 v[6:7], s[4:5], v[6:7]
	s_and_b32 s1, s11, 0xffff
	s_mul_i32 s10, s22, s10
	s_lshl_b32 s6, s1, 2
	s_mul_i32 s11, s10, s9
	s_lshl_b32 s4, s1, 3
	s_mov_b32 s5, s7
	s_mov_b32 s12, s7
	v_cmp_gt_i32_e32 vcc_lo, s9, v13
	s_branch .LBB9_6
.LBB9_5:                                ;   in Loop: Header=BB9_6 Depth=1
	s_or_b32 exec_lo, exec_lo, s13
	v_dual_add_nc_u32 v12, s10, v12 :: v_dual_add_nc_u32 v2, s11, v2
	s_delay_alu instid0(VALU_DEP_1) | instskip(SKIP_1) | instid1(SALU_CYCLE_1)
	v_cmp_le_i32_e64 s0, s8, v12
	s_or_b32 s12, s0, s12
	s_and_not1_b32 exec_lo, exec_lo, s12
	s_cbranch_execz .LBB9_9
.LBB9_6:                                ; =>This Loop Header: Depth=1
                                        ;     Child Loop BB9_8 Depth 2
	s_and_saveexec_b32 s13, vcc_lo
	s_cbranch_execz .LBB9_5
; %bb.7:                                ;   in Loop: Header=BB9_6 Depth=1
	v_ashrrev_i32_e32 v3, 31, v2
	s_mov_b32 s14, 0
	s_delay_alu instid0(VALU_DEP_1)
	v_lshl_add_u64 v[8:9], v[2:3], 2, v[4:5]
	v_lshl_add_u64 v[10:11], v[2:3], 3, v[6:7]
	v_mov_b32_e32 v3, v13
.LBB9_8:                                ;   Parent Loop BB9_6 Depth=1
                                        ; =>  This Inner Loop Header: Depth=2
	global_load_b32 v1, v[10:11], off
	s_wait_xcnt 0x0
	v_add_nc_u64_e32 v[10:11], s[4:5], v[10:11]
	s_wait_loadcnt 0x0
	v_ashrrev_i64 v[14:15], 30, v[0:1]
	s_delay_alu instid0(VALU_DEP_1)
	v_add_nc_u64_e32 v[14:15], s[2:3], v[14:15]
	global_load_b32 v1, v[8:9], off
	global_load_b32 v16, v[14:15], off
	v_add_nc_u32_e32 v3, s1, v3
	s_wait_xcnt 0x1
	v_add_nc_u64_e32 v[8:9], s[6:7], v[8:9]
	s_wait_loadcnt 0x0
	v_add_f32_e32 v1, v1, v16
	v_cmp_le_i32_e64 s0, s9, v3
	global_store_b32 v[14:15], v1, off
	s_or_b32 s14, s0, s14
	s_wait_xcnt 0x0
	s_and_not1_b32 exec_lo, exec_lo, s14
	s_cbranch_execnz .LBB9_8
	s_branch .LBB9_5
.LBB9_9:
	s_endpgm
.LBB9_10:
                                        ; implicit-def: $sgpr16_sgpr17
	s_load_b32 s11, s[0:1], 0x44
	s_branch .LBB9_2
	.section	.rodata,"a",@progbits
	.p2align	6, 0x0
	.amdhsa_kernel _ZN2at6native12_GLOBAL__N_120adaptivemaxgradinputIfEEvPT_PKS3_PKliiiiiil
		.amdhsa_group_segment_fixed_size 0
		.amdhsa_private_segment_fixed_size 0
		.amdhsa_kernarg_size 312
		.amdhsa_user_sgpr_count 2
		.amdhsa_user_sgpr_dispatch_ptr 0
		.amdhsa_user_sgpr_queue_ptr 0
		.amdhsa_user_sgpr_kernarg_segment_ptr 1
		.amdhsa_user_sgpr_dispatch_id 0
		.amdhsa_user_sgpr_kernarg_preload_length 0
		.amdhsa_user_sgpr_kernarg_preload_offset 0
		.amdhsa_user_sgpr_private_segment_size 0
		.amdhsa_wavefront_size32 1
		.amdhsa_uses_dynamic_stack 0
		.amdhsa_enable_private_segment 0
		.amdhsa_system_sgpr_workgroup_id_x 1
		.amdhsa_system_sgpr_workgroup_id_y 1
		.amdhsa_system_sgpr_workgroup_id_z 0
		.amdhsa_system_sgpr_workgroup_info 0
		.amdhsa_system_vgpr_workitem_id 1
		.amdhsa_next_free_vgpr 17
		.amdhsa_next_free_sgpr 32
		.amdhsa_named_barrier_count 0
		.amdhsa_reserve_vcc 1
		.amdhsa_float_round_mode_32 0
		.amdhsa_float_round_mode_16_64 0
		.amdhsa_float_denorm_mode_32 3
		.amdhsa_float_denorm_mode_16_64 3
		.amdhsa_fp16_overflow 0
		.amdhsa_memory_ordered 1
		.amdhsa_forward_progress 1
		.amdhsa_inst_pref_size 10
		.amdhsa_round_robin_scheduling 0
		.amdhsa_exception_fp_ieee_invalid_op 0
		.amdhsa_exception_fp_denorm_src 0
		.amdhsa_exception_fp_ieee_div_zero 0
		.amdhsa_exception_fp_ieee_overflow 0
		.amdhsa_exception_fp_ieee_underflow 0
		.amdhsa_exception_fp_ieee_inexact 0
		.amdhsa_exception_int_div_zero 0
	.end_amdhsa_kernel
	.section	.text._ZN2at6native12_GLOBAL__N_120adaptivemaxgradinputIfEEvPT_PKS3_PKliiiiiil,"axG",@progbits,_ZN2at6native12_GLOBAL__N_120adaptivemaxgradinputIfEEvPT_PKS3_PKliiiiiil,comdat
.Lfunc_end9:
	.size	_ZN2at6native12_GLOBAL__N_120adaptivemaxgradinputIfEEvPT_PKS3_PKliiiiiil, .Lfunc_end9-_ZN2at6native12_GLOBAL__N_120adaptivemaxgradinputIfEEvPT_PKS3_PKliiiiiil
                                        ; -- End function
	.set _ZN2at6native12_GLOBAL__N_120adaptivemaxgradinputIfEEvPT_PKS3_PKliiiiiil.num_vgpr, 17
	.set _ZN2at6native12_GLOBAL__N_120adaptivemaxgradinputIfEEvPT_PKS3_PKliiiiiil.num_agpr, 0
	.set _ZN2at6native12_GLOBAL__N_120adaptivemaxgradinputIfEEvPT_PKS3_PKliiiiiil.numbered_sgpr, 32
	.set _ZN2at6native12_GLOBAL__N_120adaptivemaxgradinputIfEEvPT_PKS3_PKliiiiiil.num_named_barrier, 0
	.set _ZN2at6native12_GLOBAL__N_120adaptivemaxgradinputIfEEvPT_PKS3_PKliiiiiil.private_seg_size, 0
	.set _ZN2at6native12_GLOBAL__N_120adaptivemaxgradinputIfEEvPT_PKS3_PKliiiiiil.uses_vcc, 1
	.set _ZN2at6native12_GLOBAL__N_120adaptivemaxgradinputIfEEvPT_PKS3_PKliiiiiil.uses_flat_scratch, 0
	.set _ZN2at6native12_GLOBAL__N_120adaptivemaxgradinputIfEEvPT_PKS3_PKliiiiiil.has_dyn_sized_stack, 0
	.set _ZN2at6native12_GLOBAL__N_120adaptivemaxgradinputIfEEvPT_PKS3_PKliiiiiil.has_recursion, 0
	.set _ZN2at6native12_GLOBAL__N_120adaptivemaxgradinputIfEEvPT_PKS3_PKliiiiiil.has_indirect_call, 0
	.section	.AMDGPU.csdata,"",@progbits
; Kernel info:
; codeLenInByte = 1224
; TotalNumSgprs: 34
; NumVgprs: 17
; ScratchSize: 0
; MemoryBound: 0
; FloatMode: 240
; IeeeMode: 1
; LDSByteSize: 0 bytes/workgroup (compile time only)
; SGPRBlocks: 0
; VGPRBlocks: 1
; NumSGPRsForWavesPerEU: 34
; NumVGPRsForWavesPerEU: 17
; NamedBarCnt: 0
; Occupancy: 16
; WaveLimiterHint : 1
; COMPUTE_PGM_RSRC2:SCRATCH_EN: 0
; COMPUTE_PGM_RSRC2:USER_SGPR: 2
; COMPUTE_PGM_RSRC2:TRAP_HANDLER: 0
; COMPUTE_PGM_RSRC2:TGID_X_EN: 1
; COMPUTE_PGM_RSRC2:TGID_Y_EN: 1
; COMPUTE_PGM_RSRC2:TGID_Z_EN: 0
; COMPUTE_PGM_RSRC2:TIDIG_COMP_CNT: 1
	.section	.text._ZN2at6native12_GLOBAL__N_120adaptivemaxgradinputIN3c104HalfEEEvPT_PKS5_PKliiiiiil,"axG",@progbits,_ZN2at6native12_GLOBAL__N_120adaptivemaxgradinputIN3c104HalfEEEvPT_PKS5_PKliiiiiil,comdat
	.globl	_ZN2at6native12_GLOBAL__N_120adaptivemaxgradinputIN3c104HalfEEEvPT_PKS5_PKliiiiiil ; -- Begin function _ZN2at6native12_GLOBAL__N_120adaptivemaxgradinputIN3c104HalfEEEvPT_PKS5_PKliiiiiil
	.p2align	8
	.type	_ZN2at6native12_GLOBAL__N_120adaptivemaxgradinputIN3c104HalfEEEvPT_PKS5_PKliiiiiil,@function
_ZN2at6native12_GLOBAL__N_120adaptivemaxgradinputIN3c104HalfEEEvPT_PKS5_PKliiiiiil: ; @_ZN2at6native12_GLOBAL__N_120adaptivemaxgradinputIN3c104HalfEEEvPT_PKS5_PKliiiiiil
; %bb.0:
	s_load_b256 s[4:11], s[0:1], 0x18
	s_bfe_u32 s2, ttmp6, 0x4000c
	s_and_b32 s3, ttmp6, 15
	s_add_co_i32 s2, s2, 1
	s_getreg_b32 s18, hwreg(HW_REG_IB_STS2, 6, 4)
	s_mul_i32 s2, ttmp9, s2
	s_mov_b32 s13, 0
	s_add_co_i32 s3, s3, s2
	s_cmp_eq_u32 s18, 0
	s_cselect_b32 s12, ttmp9, s3
	s_wait_kmcnt 0x0
	s_add_nc_u64 s[2:3], s[10:11], s[12:13]
	s_ashr_i32 s11, s7, 31
	s_mov_b32 s10, s7
	s_delay_alu instid0(SALU_CYCLE_1) | instskip(NEXT) | instid1(SALU_CYCLE_1)
	s_or_b64 s[14:15], s[2:3], s[10:11]
	s_and_b64 s[14:15], s[14:15], 0xffffffff00000000
	s_delay_alu instid0(SALU_CYCLE_1)
	s_cmp_lg_u64 s[14:15], 0
	s_cbranch_scc0 .LBB10_10
; %bb.1:
	s_ashr_i32 s14, s11, 31
	s_delay_alu instid0(SALU_CYCLE_1) | instskip(NEXT) | instid1(SALU_CYCLE_1)
	s_mov_b32 s15, s14
	s_add_nc_u64 s[16:17], s[10:11], s[14:15]
	s_delay_alu instid0(SALU_CYCLE_1) | instskip(NEXT) | instid1(SALU_CYCLE_1)
	s_xor_b64 s[16:17], s[16:17], s[14:15]
	s_cvt_f32_u32 s7, s16
	s_cvt_f32_u32 s11, s17
	s_sub_nc_u64 s[22:23], 0, s[16:17]
	s_delay_alu instid0(SALU_CYCLE_2) | instskip(NEXT) | instid1(SALU_CYCLE_3)
	s_fmamk_f32 s7, s11, 0x4f800000, s7
	v_s_rcp_f32 s7, s7
	s_delay_alu instid0(TRANS32_DEP_1) | instskip(NEXT) | instid1(SALU_CYCLE_3)
	s_mul_f32 s7, s7, 0x5f7ffffc
	s_mul_f32 s11, s7, 0x2f800000
	s_delay_alu instid0(SALU_CYCLE_3) | instskip(NEXT) | instid1(SALU_CYCLE_3)
	s_trunc_f32 s11, s11
	s_fmamk_f32 s7, s11, 0xcf800000, s7
	s_cvt_u32_f32 s21, s11
	s_delay_alu instid0(SALU_CYCLE_2) | instskip(NEXT) | instid1(SALU_CYCLE_3)
	s_cvt_u32_f32 s20, s7
	s_mul_u64 s[24:25], s[22:23], s[20:21]
	s_delay_alu instid0(SALU_CYCLE_1)
	s_mul_hi_u32 s27, s20, s25
	s_mul_i32 s26, s20, s25
	s_mul_hi_u32 s12, s20, s24
	s_mul_i32 s11, s21, s24
	s_add_nc_u64 s[26:27], s[12:13], s[26:27]
	s_mul_hi_u32 s7, s21, s24
	s_mul_hi_u32 s19, s21, s25
	s_add_co_u32 s11, s26, s11
	s_add_co_ci_u32 s12, s27, s7
	s_mul_i32 s24, s21, s25
	s_add_co_ci_u32 s25, s19, 0
	s_delay_alu instid0(SALU_CYCLE_1) | instskip(NEXT) | instid1(SALU_CYCLE_1)
	s_add_nc_u64 s[24:25], s[12:13], s[24:25]
	s_add_co_u32 s20, s20, s24
	s_cselect_b32 s7, -1, 0
	s_delay_alu instid0(SALU_CYCLE_1) | instskip(SKIP_1) | instid1(SALU_CYCLE_1)
	s_cmp_lg_u32 s7, 0
	s_add_co_ci_u32 s21, s21, s25
	s_mul_u64 s[22:23], s[22:23], s[20:21]
	s_delay_alu instid0(SALU_CYCLE_1)
	s_mul_hi_u32 s25, s20, s23
	s_mul_i32 s24, s20, s23
	s_mul_hi_u32 s12, s20, s22
	s_mul_i32 s11, s21, s22
	s_add_nc_u64 s[24:25], s[12:13], s[24:25]
	s_mul_hi_u32 s7, s21, s22
	s_mul_hi_u32 s19, s21, s23
	s_add_co_u32 s11, s24, s11
	s_add_co_ci_u32 s12, s25, s7
	s_mul_i32 s22, s21, s23
	s_add_co_ci_u32 s23, s19, 0
	s_delay_alu instid0(SALU_CYCLE_1) | instskip(NEXT) | instid1(SALU_CYCLE_1)
	s_add_nc_u64 s[22:23], s[12:13], s[22:23]
	s_add_co_u32 s7, s20, s22
	s_cselect_b32 s11, -1, 0
	s_delay_alu instid0(SALU_CYCLE_1) | instskip(SKIP_2) | instid1(SALU_CYCLE_1)
	s_cmp_lg_u32 s11, 0
	s_add_co_ci_u32 s11, s21, s23
	s_ashr_i32 s20, s3, 31
	s_mov_b32 s21, s20
	s_delay_alu instid0(SALU_CYCLE_1) | instskip(NEXT) | instid1(SALU_CYCLE_1)
	s_add_nc_u64 s[22:23], s[2:3], s[20:21]
	s_xor_b64 s[22:23], s[22:23], s[20:21]
	s_delay_alu instid0(SALU_CYCLE_1)
	s_mul_hi_u32 s25, s22, s11
	s_mul_i32 s24, s22, s11
	s_mul_hi_u32 s12, s22, s7
	s_mul_hi_u32 s27, s23, s7
	s_mul_i32 s7, s23, s7
	s_add_nc_u64 s[24:25], s[12:13], s[24:25]
	s_mul_hi_u32 s19, s23, s11
	s_add_co_u32 s7, s24, s7
	s_add_co_ci_u32 s12, s25, s27
	s_mul_i32 s26, s23, s11
	s_add_co_ci_u32 s27, s19, 0
	s_delay_alu instid0(SALU_CYCLE_1) | instskip(NEXT) | instid1(SALU_CYCLE_1)
	s_add_nc_u64 s[24:25], s[12:13], s[26:27]
	s_and_b64 s[26:27], s[24:25], 0xffffffff00000000
	s_delay_alu instid0(SALU_CYCLE_1) | instskip(NEXT) | instid1(SALU_CYCLE_1)
	s_or_b32 s26, s26, s24
	s_mul_u64 s[24:25], s[16:17], s[26:27]
	s_add_nc_u64 s[28:29], s[26:27], 1
	s_sub_co_u32 s7, s22, s24
	s_cselect_b32 s11, -1, 0
	s_sub_co_i32 s12, s23, s25
	s_cmp_lg_u32 s11, 0
	s_add_nc_u64 s[30:31], s[26:27], 2
	s_sub_co_ci_u32 s12, s12, s17
	s_sub_co_u32 s19, s7, s16
	s_cselect_b32 s22, -1, 0
	s_delay_alu instid0(SALU_CYCLE_1) | instskip(SKIP_1) | instid1(SALU_CYCLE_1)
	s_cmp_lg_u32 s22, 0
	s_sub_co_ci_u32 s12, s12, 0
	s_cmp_ge_u32 s12, s17
	s_cselect_b32 s22, -1, 0
	s_cmp_ge_u32 s19, s16
	s_cselect_b32 s19, -1, 0
	s_cmp_eq_u32 s12, s17
	s_cselect_b32 s12, s19, s22
	s_delay_alu instid0(SALU_CYCLE_1) | instskip(SKIP_4) | instid1(SALU_CYCLE_1)
	s_cmp_lg_u32 s12, 0
	s_cselect_b32 s12, s30, s28
	s_cselect_b32 s19, s31, s29
	s_cmp_lg_u32 s11, 0
	s_sub_co_ci_u32 s11, s23, s25
	s_cmp_ge_u32 s11, s17
	s_cselect_b32 s22, -1, 0
	s_cmp_ge_u32 s7, s16
	s_cselect_b32 s7, -1, 0
	s_cmp_eq_u32 s11, s17
	s_cselect_b32 s7, s7, s22
	s_delay_alu instid0(SALU_CYCLE_1) | instskip(SKIP_3) | instid1(SALU_CYCLE_1)
	s_cmp_lg_u32 s7, 0
	s_cselect_b32 s17, s19, s27
	s_cselect_b32 s16, s12, s26
	s_xor_b64 s[14:15], s[20:21], s[14:15]
	s_xor_b64 s[16:17], s[16:17], s[14:15]
	s_delay_alu instid0(SALU_CYCLE_1)
	s_sub_nc_u64 s[16:17], s[16:17], s[14:15]
	s_load_b32 s11, s[0:1], 0x44
	s_and_not1_b32 vcc_lo, exec_lo, s13
	s_cbranch_vccnz .LBB10_3
.LBB10_2:
	v_cvt_f32_u32_e32 v1, s10
	s_sub_co_i32 s12, 0, s10
	s_delay_alu instid0(VALU_DEP_1) | instskip(SKIP_1) | instid1(TRANS32_DEP_1)
	v_rcp_iflag_f32_e32 v1, v1
	v_nop
	v_mul_f32_e32 v1, 0x4f7ffffe, v1
	s_delay_alu instid0(VALU_DEP_1) | instskip(NEXT) | instid1(VALU_DEP_1)
	v_cvt_u32_f32_e32 v1, v1
	v_readfirstlane_b32 s7, v1
	s_mul_i32 s12, s12, s7
	s_delay_alu instid0(SALU_CYCLE_1) | instskip(NEXT) | instid1(SALU_CYCLE_1)
	s_mul_hi_u32 s12, s7, s12
	s_add_co_i32 s7, s7, s12
	s_delay_alu instid0(SALU_CYCLE_1) | instskip(NEXT) | instid1(SALU_CYCLE_1)
	s_mul_hi_u32 s7, s2, s7
	s_mul_i32 s12, s7, s10
	s_add_co_i32 s13, s7, 1
	s_sub_co_i32 s12, s2, s12
	s_delay_alu instid0(SALU_CYCLE_1)
	s_sub_co_i32 s14, s12, s10
	s_cmp_ge_u32 s12, s10
	s_cselect_b32 s7, s13, s7
	s_cselect_b32 s12, s14, s12
	s_add_co_i32 s13, s7, 1
	s_cmp_ge_u32 s12, s10
	s_cselect_b32 s16, s13, s7
.LBB10_3:
	s_bfe_u32 s7, ttmp6, 0x40010
	s_bfe_u32 s12, ttmp6, 0x40004
	s_add_co_i32 s7, s7, 1
	s_wait_kmcnt 0x0
	s_lshr_b32 s10, s11, 16
	s_mul_i32 s7, ttmp7, s7
	v_bfe_u32 v1, v0, 10, 10
	s_add_co_i32 s12, s12, s7
	s_cmp_eq_u32 s18, 0
	s_cselect_b32 s7, ttmp7, s12
	s_mov_b32 s12, exec_lo
	v_mad_u32 v12, s7, s10, v1
	s_mov_b32 s7, 0
	s_delay_alu instid0(VALU_DEP_1)
	v_cmpx_gt_i32_e64 s8, v12
	s_cbranch_execz .LBB10_9
; %bb.4:
	s_clause 0x2
	s_load_b128 s[12:15], s[0:1], 0x0
	s_load_b32 s22, s[0:1], 0x3c
	s_load_b64 s[18:19], s[0:1], 0x10
	s_wait_xcnt 0x0
	s_mul_i32 s0, s5, s4
	s_ashr_i32 s21, s9, 31
	s_mov_b32 s20, s9
	v_and_b32_e32 v13, 0x3ff, v0
	v_mov_b32_e32 v0, 0
	s_mul_i32 s0, s0, s6
	s_ashr_i32 s5, s8, 31
	s_mov_b32 s4, s8
	s_mul_u64 s[2:3], s[2:3], s[20:21]
	s_mul_i32 s16, s0, s16
	s_mul_u64 s[4:5], s[2:3], s[4:5]
	s_ashr_i32 s17, s16, 31
	v_dual_mov_b32 v5, v0 :: v_dual_lshlrev_b32 v4, 1, v13
	v_dual_mov_b32 v7, v0 :: v_dual_lshlrev_b32 v6, 3, v13
	s_lshl_b64 s[2:3], s[16:17], 1
	s_lshl_b64 s[16:17], s[4:5], 1
	v_mul_lo_u32 v2, s9, v12
	s_lshl_b64 s[4:5], s[4:5], 3
	s_wait_kmcnt 0x0
	s_add_nc_u64 s[2:3], s[12:13], s[2:3]
	s_add_nc_u64 s[12:13], s[14:15], s[16:17]
	;; [unrolled: 1-line block ×3, first 2 shown]
	v_add_nc_u64_e32 v[4:5], s[12:13], v[4:5]
	v_add_nc_u64_e32 v[6:7], s[4:5], v[6:7]
	s_and_b32 s1, s11, 0xffff
	s_mul_i32 s10, s22, s10
	s_lshl_b32 s6, s1, 1
	s_mul_i32 s11, s10, s9
	s_lshl_b32 s4, s1, 3
	s_mov_b32 s5, s7
	s_mov_b32 s12, s7
	v_cmp_gt_i32_e32 vcc_lo, s9, v13
	s_branch .LBB10_6
.LBB10_5:                               ;   in Loop: Header=BB10_6 Depth=1
	s_or_b32 exec_lo, exec_lo, s13
	v_dual_add_nc_u32 v12, s10, v12 :: v_dual_add_nc_u32 v2, s11, v2
	s_delay_alu instid0(VALU_DEP_1) | instskip(SKIP_1) | instid1(SALU_CYCLE_1)
	v_cmp_le_i32_e64 s0, s8, v12
	s_or_b32 s12, s0, s12
	s_and_not1_b32 exec_lo, exec_lo, s12
	s_cbranch_execz .LBB10_9
.LBB10_6:                               ; =>This Loop Header: Depth=1
                                        ;     Child Loop BB10_8 Depth 2
	s_and_saveexec_b32 s13, vcc_lo
	s_cbranch_execz .LBB10_5
; %bb.7:                                ;   in Loop: Header=BB10_6 Depth=1
	v_ashrrev_i32_e32 v3, 31, v2
	s_mov_b32 s14, 0
	s_delay_alu instid0(VALU_DEP_1)
	v_lshl_add_u64 v[8:9], v[2:3], 1, v[4:5]
	v_lshl_add_u64 v[10:11], v[2:3], 3, v[6:7]
	v_mov_b32_e32 v3, v13
.LBB10_8:                               ;   Parent Loop BB10_6 Depth=1
                                        ; =>  This Inner Loop Header: Depth=2
	global_load_b32 v1, v[10:11], off
	v_add_nc_u32_e32 v3, s1, v3
	s_wait_xcnt 0x0
	v_add_nc_u64_e32 v[10:11], s[4:5], v[10:11]
	s_delay_alu instid0(VALU_DEP_2) | instskip(SKIP_3) | instid1(VALU_DEP_1)
	v_cmp_le_i32_e64 s0, s9, v3
	s_or_b32 s14, s0, s14
	s_wait_loadcnt 0x0
	v_ashrrev_i64 v[14:15], 31, v[0:1]
	v_add_nc_u64_e32 v[14:15], s[2:3], v[14:15]
	global_load_u16 v1, v[8:9], off
	global_load_u16 v16, v[14:15], off
	s_wait_xcnt 0x1
	v_add_nc_u64_e32 v[8:9], s[6:7], v[8:9]
	s_wait_loadcnt 0x0
	v_add_f16_e32 v1, v1, v16
	global_store_b16 v[14:15], v1, off
	s_wait_xcnt 0x0
	s_and_not1_b32 exec_lo, exec_lo, s14
	s_cbranch_execnz .LBB10_8
	s_branch .LBB10_5
.LBB10_9:
	s_endpgm
.LBB10_10:
                                        ; implicit-def: $sgpr16_sgpr17
	s_load_b32 s11, s[0:1], 0x44
	s_branch .LBB10_2
	.section	.rodata,"a",@progbits
	.p2align	6, 0x0
	.amdhsa_kernel _ZN2at6native12_GLOBAL__N_120adaptivemaxgradinputIN3c104HalfEEEvPT_PKS5_PKliiiiiil
		.amdhsa_group_segment_fixed_size 0
		.amdhsa_private_segment_fixed_size 0
		.amdhsa_kernarg_size 312
		.amdhsa_user_sgpr_count 2
		.amdhsa_user_sgpr_dispatch_ptr 0
		.amdhsa_user_sgpr_queue_ptr 0
		.amdhsa_user_sgpr_kernarg_segment_ptr 1
		.amdhsa_user_sgpr_dispatch_id 0
		.amdhsa_user_sgpr_kernarg_preload_length 0
		.amdhsa_user_sgpr_kernarg_preload_offset 0
		.amdhsa_user_sgpr_private_segment_size 0
		.amdhsa_wavefront_size32 1
		.amdhsa_uses_dynamic_stack 0
		.amdhsa_enable_private_segment 0
		.amdhsa_system_sgpr_workgroup_id_x 1
		.amdhsa_system_sgpr_workgroup_id_y 1
		.amdhsa_system_sgpr_workgroup_id_z 0
		.amdhsa_system_sgpr_workgroup_info 0
		.amdhsa_system_vgpr_workitem_id 1
		.amdhsa_next_free_vgpr 17
		.amdhsa_next_free_sgpr 32
		.amdhsa_named_barrier_count 0
		.amdhsa_reserve_vcc 1
		.amdhsa_float_round_mode_32 0
		.amdhsa_float_round_mode_16_64 0
		.amdhsa_float_denorm_mode_32 3
		.amdhsa_float_denorm_mode_16_64 3
		.amdhsa_fp16_overflow 0
		.amdhsa_memory_ordered 1
		.amdhsa_forward_progress 1
		.amdhsa_inst_pref_size 10
		.amdhsa_round_robin_scheduling 0
		.amdhsa_exception_fp_ieee_invalid_op 0
		.amdhsa_exception_fp_denorm_src 0
		.amdhsa_exception_fp_ieee_div_zero 0
		.amdhsa_exception_fp_ieee_overflow 0
		.amdhsa_exception_fp_ieee_underflow 0
		.amdhsa_exception_fp_ieee_inexact 0
		.amdhsa_exception_int_div_zero 0
	.end_amdhsa_kernel
	.section	.text._ZN2at6native12_GLOBAL__N_120adaptivemaxgradinputIN3c104HalfEEEvPT_PKS5_PKliiiiiil,"axG",@progbits,_ZN2at6native12_GLOBAL__N_120adaptivemaxgradinputIN3c104HalfEEEvPT_PKS5_PKliiiiiil,comdat
.Lfunc_end10:
	.size	_ZN2at6native12_GLOBAL__N_120adaptivemaxgradinputIN3c104HalfEEEvPT_PKS5_PKliiiiiil, .Lfunc_end10-_ZN2at6native12_GLOBAL__N_120adaptivemaxgradinputIN3c104HalfEEEvPT_PKS5_PKliiiiiil
                                        ; -- End function
	.set _ZN2at6native12_GLOBAL__N_120adaptivemaxgradinputIN3c104HalfEEEvPT_PKS5_PKliiiiiil.num_vgpr, 17
	.set _ZN2at6native12_GLOBAL__N_120adaptivemaxgradinputIN3c104HalfEEEvPT_PKS5_PKliiiiiil.num_agpr, 0
	.set _ZN2at6native12_GLOBAL__N_120adaptivemaxgradinputIN3c104HalfEEEvPT_PKS5_PKliiiiiil.numbered_sgpr, 32
	.set _ZN2at6native12_GLOBAL__N_120adaptivemaxgradinputIN3c104HalfEEEvPT_PKS5_PKliiiiiil.num_named_barrier, 0
	.set _ZN2at6native12_GLOBAL__N_120adaptivemaxgradinputIN3c104HalfEEEvPT_PKS5_PKliiiiiil.private_seg_size, 0
	.set _ZN2at6native12_GLOBAL__N_120adaptivemaxgradinputIN3c104HalfEEEvPT_PKS5_PKliiiiiil.uses_vcc, 1
	.set _ZN2at6native12_GLOBAL__N_120adaptivemaxgradinputIN3c104HalfEEEvPT_PKS5_PKliiiiiil.uses_flat_scratch, 0
	.set _ZN2at6native12_GLOBAL__N_120adaptivemaxgradinputIN3c104HalfEEEvPT_PKS5_PKliiiiiil.has_dyn_sized_stack, 0
	.set _ZN2at6native12_GLOBAL__N_120adaptivemaxgradinputIN3c104HalfEEEvPT_PKS5_PKliiiiiil.has_recursion, 0
	.set _ZN2at6native12_GLOBAL__N_120adaptivemaxgradinputIN3c104HalfEEEvPT_PKS5_PKliiiiiil.has_indirect_call, 0
	.section	.AMDGPU.csdata,"",@progbits
; Kernel info:
; codeLenInByte = 1224
; TotalNumSgprs: 34
; NumVgprs: 17
; ScratchSize: 0
; MemoryBound: 0
; FloatMode: 240
; IeeeMode: 1
; LDSByteSize: 0 bytes/workgroup (compile time only)
; SGPRBlocks: 0
; VGPRBlocks: 1
; NumSGPRsForWavesPerEU: 34
; NumVGPRsForWavesPerEU: 17
; NamedBarCnt: 0
; Occupancy: 16
; WaveLimiterHint : 1
; COMPUTE_PGM_RSRC2:SCRATCH_EN: 0
; COMPUTE_PGM_RSRC2:USER_SGPR: 2
; COMPUTE_PGM_RSRC2:TRAP_HANDLER: 0
; COMPUTE_PGM_RSRC2:TGID_X_EN: 1
; COMPUTE_PGM_RSRC2:TGID_Y_EN: 1
; COMPUTE_PGM_RSRC2:TGID_Z_EN: 0
; COMPUTE_PGM_RSRC2:TIDIG_COMP_CNT: 1
	.section	.text._ZN2at6native12_GLOBAL__N_120adaptivemaxgradinputIN3c108BFloat16EEEvPT_PKS5_PKliiiiiil,"axG",@progbits,_ZN2at6native12_GLOBAL__N_120adaptivemaxgradinputIN3c108BFloat16EEEvPT_PKS5_PKliiiiiil,comdat
	.globl	_ZN2at6native12_GLOBAL__N_120adaptivemaxgradinputIN3c108BFloat16EEEvPT_PKS5_PKliiiiiil ; -- Begin function _ZN2at6native12_GLOBAL__N_120adaptivemaxgradinputIN3c108BFloat16EEEvPT_PKS5_PKliiiiiil
	.p2align	8
	.type	_ZN2at6native12_GLOBAL__N_120adaptivemaxgradinputIN3c108BFloat16EEEvPT_PKS5_PKliiiiiil,@function
_ZN2at6native12_GLOBAL__N_120adaptivemaxgradinputIN3c108BFloat16EEEvPT_PKS5_PKliiiiiil: ; @_ZN2at6native12_GLOBAL__N_120adaptivemaxgradinputIN3c108BFloat16EEEvPT_PKS5_PKliiiiiil
; %bb.0:
	s_load_b256 s[4:11], s[0:1], 0x18
	s_bfe_u32 s2, ttmp6, 0x4000c
	s_and_b32 s3, ttmp6, 15
	s_add_co_i32 s2, s2, 1
	s_getreg_b32 s18, hwreg(HW_REG_IB_STS2, 6, 4)
	s_mul_i32 s2, ttmp9, s2
	s_mov_b32 s13, 0
	s_add_co_i32 s3, s3, s2
	s_cmp_eq_u32 s18, 0
	s_cselect_b32 s12, ttmp9, s3
	s_wait_kmcnt 0x0
	s_add_nc_u64 s[2:3], s[10:11], s[12:13]
	s_ashr_i32 s11, s7, 31
	s_mov_b32 s10, s7
	s_delay_alu instid0(SALU_CYCLE_1) | instskip(NEXT) | instid1(SALU_CYCLE_1)
	s_or_b64 s[14:15], s[2:3], s[10:11]
	s_and_b64 s[14:15], s[14:15], 0xffffffff00000000
	s_delay_alu instid0(SALU_CYCLE_1)
	s_cmp_lg_u64 s[14:15], 0
	s_cbranch_scc0 .LBB11_10
; %bb.1:
	s_ashr_i32 s14, s11, 31
	s_delay_alu instid0(SALU_CYCLE_1) | instskip(NEXT) | instid1(SALU_CYCLE_1)
	s_mov_b32 s15, s14
	s_add_nc_u64 s[16:17], s[10:11], s[14:15]
	s_delay_alu instid0(SALU_CYCLE_1) | instskip(NEXT) | instid1(SALU_CYCLE_1)
	s_xor_b64 s[16:17], s[16:17], s[14:15]
	s_cvt_f32_u32 s7, s16
	s_cvt_f32_u32 s11, s17
	s_sub_nc_u64 s[22:23], 0, s[16:17]
	s_delay_alu instid0(SALU_CYCLE_2) | instskip(NEXT) | instid1(SALU_CYCLE_3)
	s_fmamk_f32 s7, s11, 0x4f800000, s7
	v_s_rcp_f32 s7, s7
	s_delay_alu instid0(TRANS32_DEP_1) | instskip(NEXT) | instid1(SALU_CYCLE_3)
	s_mul_f32 s7, s7, 0x5f7ffffc
	s_mul_f32 s11, s7, 0x2f800000
	s_delay_alu instid0(SALU_CYCLE_3) | instskip(NEXT) | instid1(SALU_CYCLE_3)
	s_trunc_f32 s11, s11
	s_fmamk_f32 s7, s11, 0xcf800000, s7
	s_cvt_u32_f32 s21, s11
	s_delay_alu instid0(SALU_CYCLE_2) | instskip(NEXT) | instid1(SALU_CYCLE_3)
	s_cvt_u32_f32 s20, s7
	s_mul_u64 s[24:25], s[22:23], s[20:21]
	s_delay_alu instid0(SALU_CYCLE_1)
	s_mul_hi_u32 s27, s20, s25
	s_mul_i32 s26, s20, s25
	s_mul_hi_u32 s12, s20, s24
	s_mul_i32 s11, s21, s24
	s_add_nc_u64 s[26:27], s[12:13], s[26:27]
	s_mul_hi_u32 s7, s21, s24
	s_mul_hi_u32 s19, s21, s25
	s_add_co_u32 s11, s26, s11
	s_add_co_ci_u32 s12, s27, s7
	s_mul_i32 s24, s21, s25
	s_add_co_ci_u32 s25, s19, 0
	s_delay_alu instid0(SALU_CYCLE_1) | instskip(NEXT) | instid1(SALU_CYCLE_1)
	s_add_nc_u64 s[24:25], s[12:13], s[24:25]
	s_add_co_u32 s20, s20, s24
	s_cselect_b32 s7, -1, 0
	s_delay_alu instid0(SALU_CYCLE_1) | instskip(SKIP_1) | instid1(SALU_CYCLE_1)
	s_cmp_lg_u32 s7, 0
	s_add_co_ci_u32 s21, s21, s25
	s_mul_u64 s[22:23], s[22:23], s[20:21]
	s_delay_alu instid0(SALU_CYCLE_1)
	s_mul_hi_u32 s25, s20, s23
	s_mul_i32 s24, s20, s23
	s_mul_hi_u32 s12, s20, s22
	s_mul_i32 s11, s21, s22
	s_add_nc_u64 s[24:25], s[12:13], s[24:25]
	s_mul_hi_u32 s7, s21, s22
	s_mul_hi_u32 s19, s21, s23
	s_add_co_u32 s11, s24, s11
	s_add_co_ci_u32 s12, s25, s7
	s_mul_i32 s22, s21, s23
	s_add_co_ci_u32 s23, s19, 0
	s_delay_alu instid0(SALU_CYCLE_1) | instskip(NEXT) | instid1(SALU_CYCLE_1)
	s_add_nc_u64 s[22:23], s[12:13], s[22:23]
	s_add_co_u32 s7, s20, s22
	s_cselect_b32 s11, -1, 0
	s_delay_alu instid0(SALU_CYCLE_1) | instskip(SKIP_2) | instid1(SALU_CYCLE_1)
	s_cmp_lg_u32 s11, 0
	s_add_co_ci_u32 s11, s21, s23
	s_ashr_i32 s20, s3, 31
	s_mov_b32 s21, s20
	s_delay_alu instid0(SALU_CYCLE_1) | instskip(NEXT) | instid1(SALU_CYCLE_1)
	s_add_nc_u64 s[22:23], s[2:3], s[20:21]
	s_xor_b64 s[22:23], s[22:23], s[20:21]
	s_delay_alu instid0(SALU_CYCLE_1)
	s_mul_hi_u32 s25, s22, s11
	s_mul_i32 s24, s22, s11
	s_mul_hi_u32 s12, s22, s7
	s_mul_hi_u32 s27, s23, s7
	s_mul_i32 s7, s23, s7
	s_add_nc_u64 s[24:25], s[12:13], s[24:25]
	s_mul_hi_u32 s19, s23, s11
	s_add_co_u32 s7, s24, s7
	s_add_co_ci_u32 s12, s25, s27
	s_mul_i32 s26, s23, s11
	s_add_co_ci_u32 s27, s19, 0
	s_delay_alu instid0(SALU_CYCLE_1) | instskip(NEXT) | instid1(SALU_CYCLE_1)
	s_add_nc_u64 s[24:25], s[12:13], s[26:27]
	s_and_b64 s[26:27], s[24:25], 0xffffffff00000000
	s_delay_alu instid0(SALU_CYCLE_1) | instskip(NEXT) | instid1(SALU_CYCLE_1)
	s_or_b32 s26, s26, s24
	s_mul_u64 s[24:25], s[16:17], s[26:27]
	s_add_nc_u64 s[28:29], s[26:27], 1
	s_sub_co_u32 s7, s22, s24
	s_cselect_b32 s11, -1, 0
	s_sub_co_i32 s12, s23, s25
	s_cmp_lg_u32 s11, 0
	s_add_nc_u64 s[30:31], s[26:27], 2
	s_sub_co_ci_u32 s12, s12, s17
	s_sub_co_u32 s19, s7, s16
	s_cselect_b32 s22, -1, 0
	s_delay_alu instid0(SALU_CYCLE_1) | instskip(SKIP_1) | instid1(SALU_CYCLE_1)
	s_cmp_lg_u32 s22, 0
	s_sub_co_ci_u32 s12, s12, 0
	s_cmp_ge_u32 s12, s17
	s_cselect_b32 s22, -1, 0
	s_cmp_ge_u32 s19, s16
	s_cselect_b32 s19, -1, 0
	s_cmp_eq_u32 s12, s17
	s_cselect_b32 s12, s19, s22
	s_delay_alu instid0(SALU_CYCLE_1) | instskip(SKIP_4) | instid1(SALU_CYCLE_1)
	s_cmp_lg_u32 s12, 0
	s_cselect_b32 s12, s30, s28
	s_cselect_b32 s19, s31, s29
	s_cmp_lg_u32 s11, 0
	s_sub_co_ci_u32 s11, s23, s25
	s_cmp_ge_u32 s11, s17
	s_cselect_b32 s22, -1, 0
	s_cmp_ge_u32 s7, s16
	s_cselect_b32 s7, -1, 0
	s_cmp_eq_u32 s11, s17
	s_cselect_b32 s7, s7, s22
	s_delay_alu instid0(SALU_CYCLE_1) | instskip(SKIP_3) | instid1(SALU_CYCLE_1)
	s_cmp_lg_u32 s7, 0
	s_cselect_b32 s17, s19, s27
	s_cselect_b32 s16, s12, s26
	s_xor_b64 s[14:15], s[20:21], s[14:15]
	s_xor_b64 s[16:17], s[16:17], s[14:15]
	s_delay_alu instid0(SALU_CYCLE_1)
	s_sub_nc_u64 s[16:17], s[16:17], s[14:15]
	s_load_b32 s11, s[0:1], 0x44
	s_and_not1_b32 vcc_lo, exec_lo, s13
	s_cbranch_vccnz .LBB11_3
.LBB11_2:
	v_cvt_f32_u32_e32 v1, s10
	s_sub_co_i32 s12, 0, s10
	s_delay_alu instid0(VALU_DEP_1) | instskip(SKIP_1) | instid1(TRANS32_DEP_1)
	v_rcp_iflag_f32_e32 v1, v1
	v_nop
	v_mul_f32_e32 v1, 0x4f7ffffe, v1
	s_delay_alu instid0(VALU_DEP_1) | instskip(NEXT) | instid1(VALU_DEP_1)
	v_cvt_u32_f32_e32 v1, v1
	v_readfirstlane_b32 s7, v1
	s_mul_i32 s12, s12, s7
	s_delay_alu instid0(SALU_CYCLE_1) | instskip(NEXT) | instid1(SALU_CYCLE_1)
	s_mul_hi_u32 s12, s7, s12
	s_add_co_i32 s7, s7, s12
	s_delay_alu instid0(SALU_CYCLE_1) | instskip(NEXT) | instid1(SALU_CYCLE_1)
	s_mul_hi_u32 s7, s2, s7
	s_mul_i32 s12, s7, s10
	s_add_co_i32 s13, s7, 1
	s_sub_co_i32 s12, s2, s12
	s_delay_alu instid0(SALU_CYCLE_1)
	s_sub_co_i32 s14, s12, s10
	s_cmp_ge_u32 s12, s10
	s_cselect_b32 s7, s13, s7
	s_cselect_b32 s12, s14, s12
	s_add_co_i32 s13, s7, 1
	s_cmp_ge_u32 s12, s10
	s_cselect_b32 s16, s13, s7
.LBB11_3:
	s_bfe_u32 s7, ttmp6, 0x40010
	s_bfe_u32 s10, ttmp6, 0x40004
	s_add_co_i32 s7, s7, 1
	s_wait_kmcnt 0x0
	s_lshr_b32 s17, s11, 16
	s_mul_i32 s7, ttmp7, s7
	v_bfe_u32 v1, v0, 10, 10
	s_add_co_i32 s10, s10, s7
	s_cmp_eq_u32 s18, 0
	s_cselect_b32 s7, ttmp7, s10
	s_mov_b32 s10, exec_lo
	v_mad_u32 v12, s7, s17, v1
	s_mov_b32 s7, 0
	s_delay_alu instid0(VALU_DEP_1)
	v_cmpx_gt_i32_e64 s8, v12
	s_cbranch_execz .LBB11_9
; %bb.4:
	s_clause 0x2
	s_load_b128 s[12:15], s[0:1], 0x0
	s_load_b32 s20, s[0:1], 0x3c
	s_load_b64 s[18:19], s[0:1], 0x10
	s_mul_i32 s21, s5, s4
	s_ashr_i32 s5, s9, 31
	s_mov_b32 s4, s9
	v_and_b32_e32 v13, 0x3ff, v0
	v_mov_b32_e32 v0, 0
	s_mul_i32 s6, s21, s6
	s_wait_xcnt 0x0
	s_ashr_i32 s1, s8, 31
	s_mov_b32 s0, s8
	s_mul_u64 s[2:3], s[2:3], s[4:5]
	s_mul_i32 s4, s6, s16
	s_mul_u64 s[0:1], s[2:3], s[0:1]
	s_ashr_i32 s5, s4, 31
	v_dual_mov_b32 v5, v0 :: v_dual_lshlrev_b32 v4, 1, v13
	v_dual_mov_b32 v7, v0 :: v_dual_lshlrev_b32 v6, 3, v13
	s_lshl_b64 s[2:3], s[4:5], 1
	s_lshl_b64 s[4:5], s[0:1], 1
	v_mul_lo_u32 v2, s9, v12
	s_lshl_b64 s[0:1], s[0:1], 3
	s_wait_kmcnt 0x0
	s_add_nc_u64 s[4:5], s[14:15], s[4:5]
	s_add_nc_u64 s[0:1], s[18:19], s[0:1]
	v_add_nc_u64_e32 v[4:5], s[4:5], v[4:5]
	v_add_nc_u64_e32 v[6:7], s[0:1], v[6:7]
	s_and_b32 s10, s11, 0xffff
	s_mul_i32 s11, s20, s17
	s_add_nc_u64 s[2:3], s[12:13], s[2:3]
	s_mul_i32 s12, s11, s9
	s_lshl_b32 s6, s10, 1
	s_lshl_b32 s4, s10, 3
	s_mov_b32 s5, s7
	s_mov_b32 s13, s7
	v_cmp_gt_i32_e32 vcc_lo, s9, v13
	s_branch .LBB11_6
.LBB11_5:                               ;   in Loop: Header=BB11_6 Depth=1
	s_or_b32 exec_lo, exec_lo, s14
	v_dual_add_nc_u32 v12, s11, v12 :: v_dual_add_nc_u32 v2, s12, v2
	s_delay_alu instid0(VALU_DEP_1) | instskip(SKIP_1) | instid1(SALU_CYCLE_1)
	v_cmp_le_i32_e64 s0, s8, v12
	s_or_b32 s13, s0, s13
	s_and_not1_b32 exec_lo, exec_lo, s13
	s_cbranch_execz .LBB11_9
.LBB11_6:                               ; =>This Loop Header: Depth=1
                                        ;     Child Loop BB11_8 Depth 2
	s_and_saveexec_b32 s14, vcc_lo
	s_cbranch_execz .LBB11_5
; %bb.7:                                ;   in Loop: Header=BB11_6 Depth=1
	v_ashrrev_i32_e32 v3, 31, v2
	s_mov_b32 s15, 0
	s_delay_alu instid0(VALU_DEP_1)
	v_lshl_add_u64 v[8:9], v[2:3], 1, v[4:5]
	v_lshl_add_u64 v[10:11], v[2:3], 3, v[6:7]
	v_mov_b32_e32 v3, v13
.LBB11_8:                               ;   Parent Loop BB11_6 Depth=1
                                        ; =>  This Inner Loop Header: Depth=2
	global_load_b32 v1, v[10:11], off
	s_wait_xcnt 0x0
	v_add_nc_u64_e32 v[10:11], s[4:5], v[10:11]
	v_add_nc_u32_e32 v3, s10, v3
	s_delay_alu instid0(VALU_DEP_1) | instskip(SKIP_3) | instid1(VALU_DEP_1)
	v_cmp_le_i32_e64 s0, s9, v3
	s_or_b32 s15, s0, s15
	s_wait_loadcnt 0x0
	v_ashrrev_i64 v[14:15], 31, v[0:1]
	v_add_nc_u64_e32 v[14:15], s[2:3], v[14:15]
	global_load_u16 v1, v[8:9], off
	global_load_u16 v16, v[14:15], off
	s_wait_xcnt 0x1
	v_add_nc_u64_e32 v[8:9], s[6:7], v[8:9]
	s_wait_loadcnt 0x0
	v_dual_lshlrev_b32 v1, 16, v1 :: v_dual_lshlrev_b32 v16, 16, v16
	s_delay_alu instid0(VALU_DEP_1) | instskip(NEXT) | instid1(VALU_DEP_1)
	v_add_f32_e32 v1, v16, v1
	v_bfe_u32 v16, v1, 16, 1
	v_cmp_o_f32_e64 s1, v1, v1
	s_delay_alu instid0(VALU_DEP_2) | instskip(NEXT) | instid1(VALU_DEP_1)
	v_add3_u32 v16, v1, v16, 0x7fff
	v_lshrrev_b32_e32 v16, 16, v16
	s_delay_alu instid0(VALU_DEP_1)
	v_cndmask_b32_e64 v1, 0x7fc0, v16, s1
	global_store_b16 v[14:15], v1, off
	s_wait_xcnt 0x0
	s_and_not1_b32 exec_lo, exec_lo, s15
	s_cbranch_execnz .LBB11_8
	s_branch .LBB11_5
.LBB11_9:
	s_endpgm
.LBB11_10:
                                        ; implicit-def: $sgpr16_sgpr17
	s_load_b32 s11, s[0:1], 0x44
	s_branch .LBB11_2
	.section	.rodata,"a",@progbits
	.p2align	6, 0x0
	.amdhsa_kernel _ZN2at6native12_GLOBAL__N_120adaptivemaxgradinputIN3c108BFloat16EEEvPT_PKS5_PKliiiiiil
		.amdhsa_group_segment_fixed_size 0
		.amdhsa_private_segment_fixed_size 0
		.amdhsa_kernarg_size 312
		.amdhsa_user_sgpr_count 2
		.amdhsa_user_sgpr_dispatch_ptr 0
		.amdhsa_user_sgpr_queue_ptr 0
		.amdhsa_user_sgpr_kernarg_segment_ptr 1
		.amdhsa_user_sgpr_dispatch_id 0
		.amdhsa_user_sgpr_kernarg_preload_length 0
		.amdhsa_user_sgpr_kernarg_preload_offset 0
		.amdhsa_user_sgpr_private_segment_size 0
		.amdhsa_wavefront_size32 1
		.amdhsa_uses_dynamic_stack 0
		.amdhsa_enable_private_segment 0
		.amdhsa_system_sgpr_workgroup_id_x 1
		.amdhsa_system_sgpr_workgroup_id_y 1
		.amdhsa_system_sgpr_workgroup_id_z 0
		.amdhsa_system_sgpr_workgroup_info 0
		.amdhsa_system_vgpr_workitem_id 1
		.amdhsa_next_free_vgpr 17
		.amdhsa_next_free_sgpr 32
		.amdhsa_named_barrier_count 0
		.amdhsa_reserve_vcc 1
		.amdhsa_float_round_mode_32 0
		.amdhsa_float_round_mode_16_64 0
		.amdhsa_float_denorm_mode_32 3
		.amdhsa_float_denorm_mode_16_64 3
		.amdhsa_fp16_overflow 0
		.amdhsa_memory_ordered 1
		.amdhsa_forward_progress 1
		.amdhsa_inst_pref_size 11
		.amdhsa_round_robin_scheduling 0
		.amdhsa_exception_fp_ieee_invalid_op 0
		.amdhsa_exception_fp_denorm_src 0
		.amdhsa_exception_fp_ieee_div_zero 0
		.amdhsa_exception_fp_ieee_overflow 0
		.amdhsa_exception_fp_ieee_underflow 0
		.amdhsa_exception_fp_ieee_inexact 0
		.amdhsa_exception_int_div_zero 0
	.end_amdhsa_kernel
	.section	.text._ZN2at6native12_GLOBAL__N_120adaptivemaxgradinputIN3c108BFloat16EEEvPT_PKS5_PKliiiiiil,"axG",@progbits,_ZN2at6native12_GLOBAL__N_120adaptivemaxgradinputIN3c108BFloat16EEEvPT_PKS5_PKliiiiiil,comdat
.Lfunc_end11:
	.size	_ZN2at6native12_GLOBAL__N_120adaptivemaxgradinputIN3c108BFloat16EEEvPT_PKS5_PKliiiiiil, .Lfunc_end11-_ZN2at6native12_GLOBAL__N_120adaptivemaxgradinputIN3c108BFloat16EEEvPT_PKS5_PKliiiiiil
                                        ; -- End function
	.set _ZN2at6native12_GLOBAL__N_120adaptivemaxgradinputIN3c108BFloat16EEEvPT_PKS5_PKliiiiiil.num_vgpr, 17
	.set _ZN2at6native12_GLOBAL__N_120adaptivemaxgradinputIN3c108BFloat16EEEvPT_PKS5_PKliiiiiil.num_agpr, 0
	.set _ZN2at6native12_GLOBAL__N_120adaptivemaxgradinputIN3c108BFloat16EEEvPT_PKS5_PKliiiiiil.numbered_sgpr, 32
	.set _ZN2at6native12_GLOBAL__N_120adaptivemaxgradinputIN3c108BFloat16EEEvPT_PKS5_PKliiiiiil.num_named_barrier, 0
	.set _ZN2at6native12_GLOBAL__N_120adaptivemaxgradinputIN3c108BFloat16EEEvPT_PKS5_PKliiiiiil.private_seg_size, 0
	.set _ZN2at6native12_GLOBAL__N_120adaptivemaxgradinputIN3c108BFloat16EEEvPT_PKS5_PKliiiiiil.uses_vcc, 1
	.set _ZN2at6native12_GLOBAL__N_120adaptivemaxgradinputIN3c108BFloat16EEEvPT_PKS5_PKliiiiiil.uses_flat_scratch, 0
	.set _ZN2at6native12_GLOBAL__N_120adaptivemaxgradinputIN3c108BFloat16EEEvPT_PKS5_PKliiiiiil.has_dyn_sized_stack, 0
	.set _ZN2at6native12_GLOBAL__N_120adaptivemaxgradinputIN3c108BFloat16EEEvPT_PKS5_PKliiiiiil.has_recursion, 0
	.set _ZN2at6native12_GLOBAL__N_120adaptivemaxgradinputIN3c108BFloat16EEEvPT_PKS5_PKliiiiiil.has_indirect_call, 0
	.section	.AMDGPU.csdata,"",@progbits
; Kernel info:
; codeLenInByte = 1292
; TotalNumSgprs: 34
; NumVgprs: 17
; ScratchSize: 0
; MemoryBound: 0
; FloatMode: 240
; IeeeMode: 1
; LDSByteSize: 0 bytes/workgroup (compile time only)
; SGPRBlocks: 0
; VGPRBlocks: 1
; NumSGPRsForWavesPerEU: 34
; NumVGPRsForWavesPerEU: 17
; NamedBarCnt: 0
; Occupancy: 16
; WaveLimiterHint : 1
; COMPUTE_PGM_RSRC2:SCRATCH_EN: 0
; COMPUTE_PGM_RSRC2:USER_SGPR: 2
; COMPUTE_PGM_RSRC2:TRAP_HANDLER: 0
; COMPUTE_PGM_RSRC2:TGID_X_EN: 1
; COMPUTE_PGM_RSRC2:TGID_Y_EN: 1
; COMPUTE_PGM_RSRC2:TGID_Z_EN: 0
; COMPUTE_PGM_RSRC2:TIDIG_COMP_CNT: 1
	.section	.AMDGPU.gpr_maximums,"",@progbits
	.set amdgpu.max_num_vgpr, 0
	.set amdgpu.max_num_agpr, 0
	.set amdgpu.max_num_sgpr, 0
	.section	.AMDGPU.csdata,"",@progbits
	.type	__hip_cuid_c18299a13059de02,@object ; @__hip_cuid_c18299a13059de02
	.section	.bss,"aw",@nobits
	.globl	__hip_cuid_c18299a13059de02
__hip_cuid_c18299a13059de02:
	.byte	0                               ; 0x0
	.size	__hip_cuid_c18299a13059de02, 1

	.ident	"AMD clang version 22.0.0git (https://github.com/RadeonOpenCompute/llvm-project roc-7.2.4 26084 f58b06dce1f9c15707c5f808fd002e18c2accf7e)"
	.section	".note.GNU-stack","",@progbits
	.addrsig
	.addrsig_sym __hip_cuid_c18299a13059de02
	.amdgpu_metadata
---
amdhsa.kernels:
  - .args:
      - .address_space:  global
        .offset:         0
        .size:           8
        .value_kind:     global_buffer
      - .address_space:  global
        .offset:         8
        .size:           8
        .value_kind:     global_buffer
      - .address_space:  global
        .offset:         16
        .size:           8
        .value_kind:     global_buffer
      - .offset:         24
        .size:           4
        .value_kind:     by_value
      - .offset:         28
        .size:           4
        .value_kind:     by_value
      - .offset:         32
        .size:           4
        .value_kind:     by_value
      - .offset:         36
        .size:           4
        .value_kind:     by_value
      - .offset:         40
        .size:           4
        .value_kind:     by_value
      - .offset:         44
        .size:           4
        .value_kind:     by_value
      - .offset:         48
        .size:           8
        .value_kind:     by_value
      - .offset:         56
        .size:           8
        .value_kind:     by_value
      - .offset:         64
        .size:           8
        .value_kind:     by_value
      - .offset:         72
        .size:           8
        .value_kind:     by_value
      - .offset:         80
        .size:           8
        .value_kind:     by_value
      - .offset:         88
        .size:           4
        .value_kind:     hidden_block_count_x
      - .offset:         92
        .size:           4
        .value_kind:     hidden_block_count_y
      - .offset:         96
        .size:           4
        .value_kind:     hidden_block_count_z
      - .offset:         100
        .size:           2
        .value_kind:     hidden_group_size_x
      - .offset:         102
        .size:           2
        .value_kind:     hidden_group_size_y
      - .offset:         104
        .size:           2
        .value_kind:     hidden_group_size_z
      - .offset:         106
        .size:           2
        .value_kind:     hidden_remainder_x
      - .offset:         108
        .size:           2
        .value_kind:     hidden_remainder_y
      - .offset:         110
        .size:           2
        .value_kind:     hidden_remainder_z
      - .offset:         128
        .size:           8
        .value_kind:     hidden_global_offset_x
      - .offset:         136
        .size:           8
        .value_kind:     hidden_global_offset_y
      - .offset:         144
        .size:           8
        .value_kind:     hidden_global_offset_z
      - .offset:         152
        .size:           2
        .value_kind:     hidden_grid_dims
    .group_segment_fixed_size: 0
    .kernarg_segment_align: 8
    .kernarg_segment_size: 344
    .language:       OpenCL C
    .language_version:
      - 2
      - 0
    .max_flat_workgroup_size: 1024
    .name:           _ZN2at6native12_GLOBAL__N_115adaptivemaxpoolIdEEvPKT_PS3_Pliiiiiilllll
    .private_segment_fixed_size: 0
    .sgpr_count:     64
    .sgpr_spill_count: 0
    .symbol:         _ZN2at6native12_GLOBAL__N_115adaptivemaxpoolIdEEvPKT_PS3_Pliiiiiilllll.kd
    .uniform_work_group_size: 1
    .uses_dynamic_stack: false
    .vgpr_count:     34
    .vgpr_spill_count: 0
    .wavefront_size: 32
  - .args:
      - .address_space:  global
        .offset:         0
        .size:           8
        .value_kind:     global_buffer
      - .address_space:  global
        .offset:         8
        .size:           8
        .value_kind:     global_buffer
      - .address_space:  global
        .offset:         16
        .size:           8
        .value_kind:     global_buffer
      - .offset:         24
        .size:           4
        .value_kind:     by_value
      - .offset:         28
        .size:           4
        .value_kind:     by_value
      - .offset:         32
        .size:           4
        .value_kind:     by_value
      - .offset:         36
        .size:           4
        .value_kind:     by_value
      - .offset:         40
        .size:           4
        .value_kind:     by_value
      - .offset:         44
        .size:           4
        .value_kind:     by_value
      - .offset:         48
        .size:           8
        .value_kind:     by_value
      - .offset:         56
        .size:           8
        .value_kind:     by_value
      - .offset:         64
        .size:           8
        .value_kind:     by_value
      - .offset:         72
        .size:           8
        .value_kind:     by_value
      - .offset:         80
        .size:           8
        .value_kind:     by_value
      - .offset:         88
        .size:           4
        .value_kind:     hidden_block_count_x
      - .offset:         92
        .size:           4
        .value_kind:     hidden_block_count_y
      - .offset:         96
        .size:           4
        .value_kind:     hidden_block_count_z
      - .offset:         100
        .size:           2
        .value_kind:     hidden_group_size_x
      - .offset:         102
        .size:           2
        .value_kind:     hidden_group_size_y
      - .offset:         104
        .size:           2
        .value_kind:     hidden_group_size_z
      - .offset:         106
        .size:           2
        .value_kind:     hidden_remainder_x
      - .offset:         108
        .size:           2
        .value_kind:     hidden_remainder_y
      - .offset:         110
        .size:           2
        .value_kind:     hidden_remainder_z
      - .offset:         128
        .size:           8
        .value_kind:     hidden_global_offset_x
      - .offset:         136
        .size:           8
        .value_kind:     hidden_global_offset_y
      - .offset:         144
        .size:           8
        .value_kind:     hidden_global_offset_z
      - .offset:         152
        .size:           2
        .value_kind:     hidden_grid_dims
    .group_segment_fixed_size: 0
    .kernarg_segment_align: 8
    .kernarg_segment_size: 344
    .language:       OpenCL C
    .language_version:
      - 2
      - 0
    .max_flat_workgroup_size: 1024
    .name:           _ZN2at6native12_GLOBAL__N_115adaptivemaxpoolIfEEvPKT_PS3_Pliiiiiilllll
    .private_segment_fixed_size: 0
    .sgpr_count:     64
    .sgpr_spill_count: 0
    .symbol:         _ZN2at6native12_GLOBAL__N_115adaptivemaxpoolIfEEvPKT_PS3_Pliiiiiilllll.kd
    .uniform_work_group_size: 1
    .uses_dynamic_stack: false
    .vgpr_count:     34
    .vgpr_spill_count: 0
    .wavefront_size: 32
  - .args:
      - .address_space:  global
        .offset:         0
        .size:           8
        .value_kind:     global_buffer
      - .address_space:  global
        .offset:         8
        .size:           8
        .value_kind:     global_buffer
      - .address_space:  global
        .offset:         16
        .size:           8
        .value_kind:     global_buffer
      - .offset:         24
        .size:           4
        .value_kind:     by_value
      - .offset:         28
        .size:           4
        .value_kind:     by_value
      - .offset:         32
        .size:           4
        .value_kind:     by_value
      - .offset:         36
        .size:           4
        .value_kind:     by_value
      - .offset:         40
        .size:           4
        .value_kind:     by_value
      - .offset:         44
        .size:           4
        .value_kind:     by_value
      - .offset:         48
        .size:           8
        .value_kind:     by_value
      - .offset:         56
        .size:           8
        .value_kind:     by_value
      - .offset:         64
        .size:           8
        .value_kind:     by_value
      - .offset:         72
        .size:           8
        .value_kind:     by_value
      - .offset:         80
        .size:           8
        .value_kind:     by_value
      - .offset:         88
        .size:           4
        .value_kind:     hidden_block_count_x
      - .offset:         92
        .size:           4
        .value_kind:     hidden_block_count_y
      - .offset:         96
        .size:           4
        .value_kind:     hidden_block_count_z
      - .offset:         100
        .size:           2
        .value_kind:     hidden_group_size_x
      - .offset:         102
        .size:           2
        .value_kind:     hidden_group_size_y
      - .offset:         104
        .size:           2
        .value_kind:     hidden_group_size_z
      - .offset:         106
        .size:           2
        .value_kind:     hidden_remainder_x
      - .offset:         108
        .size:           2
        .value_kind:     hidden_remainder_y
      - .offset:         110
        .size:           2
        .value_kind:     hidden_remainder_z
      - .offset:         128
        .size:           8
        .value_kind:     hidden_global_offset_x
      - .offset:         136
        .size:           8
        .value_kind:     hidden_global_offset_y
      - .offset:         144
        .size:           8
        .value_kind:     hidden_global_offset_z
      - .offset:         152
        .size:           2
        .value_kind:     hidden_grid_dims
    .group_segment_fixed_size: 0
    .kernarg_segment_align: 8
    .kernarg_segment_size: 344
    .language:       OpenCL C
    .language_version:
      - 2
      - 0
    .max_flat_workgroup_size: 1024
    .name:           _ZN2at6native12_GLOBAL__N_115adaptivemaxpoolIN3c104HalfEEEvPKT_PS5_Pliiiiiilllll
    .private_segment_fixed_size: 0
    .sgpr_count:     64
    .sgpr_spill_count: 0
    .symbol:         _ZN2at6native12_GLOBAL__N_115adaptivemaxpoolIN3c104HalfEEEvPKT_PS5_Pliiiiiilllll.kd
    .uniform_work_group_size: 1
    .uses_dynamic_stack: false
    .vgpr_count:     34
    .vgpr_spill_count: 0
    .wavefront_size: 32
  - .args:
      - .address_space:  global
        .offset:         0
        .size:           8
        .value_kind:     global_buffer
      - .address_space:  global
        .offset:         8
        .size:           8
        .value_kind:     global_buffer
      - .address_space:  global
        .offset:         16
        .size:           8
        .value_kind:     global_buffer
      - .offset:         24
        .size:           4
        .value_kind:     by_value
      - .offset:         28
        .size:           4
        .value_kind:     by_value
      - .offset:         32
        .size:           4
        .value_kind:     by_value
      - .offset:         36
        .size:           4
        .value_kind:     by_value
      - .offset:         40
        .size:           4
        .value_kind:     by_value
      - .offset:         44
        .size:           4
        .value_kind:     by_value
      - .offset:         48
        .size:           8
        .value_kind:     by_value
      - .offset:         56
        .size:           8
        .value_kind:     by_value
      - .offset:         64
        .size:           8
        .value_kind:     by_value
      - .offset:         72
        .size:           8
        .value_kind:     by_value
      - .offset:         80
        .size:           8
        .value_kind:     by_value
      - .offset:         88
        .size:           4
        .value_kind:     hidden_block_count_x
      - .offset:         92
        .size:           4
        .value_kind:     hidden_block_count_y
      - .offset:         96
        .size:           4
        .value_kind:     hidden_block_count_z
      - .offset:         100
        .size:           2
        .value_kind:     hidden_group_size_x
      - .offset:         102
        .size:           2
        .value_kind:     hidden_group_size_y
      - .offset:         104
        .size:           2
        .value_kind:     hidden_group_size_z
      - .offset:         106
        .size:           2
        .value_kind:     hidden_remainder_x
      - .offset:         108
        .size:           2
        .value_kind:     hidden_remainder_y
      - .offset:         110
        .size:           2
        .value_kind:     hidden_remainder_z
      - .offset:         128
        .size:           8
        .value_kind:     hidden_global_offset_x
      - .offset:         136
        .size:           8
        .value_kind:     hidden_global_offset_y
      - .offset:         144
        .size:           8
        .value_kind:     hidden_global_offset_z
      - .offset:         152
        .size:           2
        .value_kind:     hidden_grid_dims
    .group_segment_fixed_size: 0
    .kernarg_segment_align: 8
    .kernarg_segment_size: 344
    .language:       OpenCL C
    .language_version:
      - 2
      - 0
    .max_flat_workgroup_size: 1024
    .name:           _ZN2at6native12_GLOBAL__N_115adaptivemaxpoolIN3c108BFloat16EEEvPKT_PS5_Pliiiiiilllll
    .private_segment_fixed_size: 0
    .sgpr_count:     64
    .sgpr_spill_count: 0
    .symbol:         _ZN2at6native12_GLOBAL__N_115adaptivemaxpoolIN3c108BFloat16EEEvPKT_PS5_Pliiiiiilllll.kd
    .uniform_work_group_size: 1
    .uses_dynamic_stack: false
    .vgpr_count:     34
    .vgpr_spill_count: 0
    .wavefront_size: 32
  - .args:
      - .address_space:  global
        .offset:         0
        .size:           8
        .value_kind:     global_buffer
      - .address_space:  global
        .offset:         8
        .size:           8
        .value_kind:     global_buffer
      - .address_space:  global
        .offset:         16
        .size:           8
        .value_kind:     global_buffer
      - .offset:         24
        .size:           4
        .value_kind:     by_value
      - .offset:         28
        .size:           4
        .value_kind:     by_value
      - .offset:         32
        .size:           4
        .value_kind:     by_value
      - .offset:         36
        .size:           4
        .value_kind:     by_value
      - .offset:         40
        .size:           4
        .value_kind:     by_value
      - .offset:         44
        .size:           4
        .value_kind:     by_value
      - .offset:         48
        .size:           8
        .value_kind:     by_value
      - .offset:         56
        .size:           4
        .value_kind:     hidden_block_count_x
      - .offset:         60
        .size:           4
        .value_kind:     hidden_block_count_y
      - .offset:         64
        .size:           4
        .value_kind:     hidden_block_count_z
      - .offset:         68
        .size:           2
        .value_kind:     hidden_group_size_x
      - .offset:         70
        .size:           2
        .value_kind:     hidden_group_size_y
      - .offset:         72
        .size:           2
        .value_kind:     hidden_group_size_z
      - .offset:         74
        .size:           2
        .value_kind:     hidden_remainder_x
      - .offset:         76
        .size:           2
        .value_kind:     hidden_remainder_y
      - .offset:         78
        .size:           2
        .value_kind:     hidden_remainder_z
      - .offset:         96
        .size:           8
        .value_kind:     hidden_global_offset_x
      - .offset:         104
        .size:           8
        .value_kind:     hidden_global_offset_y
      - .offset:         112
        .size:           8
        .value_kind:     hidden_global_offset_z
      - .offset:         120
        .size:           2
        .value_kind:     hidden_grid_dims
    .group_segment_fixed_size: 0
    .kernarg_segment_align: 8
    .kernarg_segment_size: 312
    .language:       OpenCL C
    .language_version:
      - 2
      - 0
    .max_flat_workgroup_size: 1024
    .name:           _ZN2at6native12_GLOBAL__N_126atomicadaptivemaxgradinputIdEEvPT_PKS3_PKliiiiiil
    .private_segment_fixed_size: 0
    .sgpr_count:     34
    .sgpr_spill_count: 0
    .symbol:         _ZN2at6native12_GLOBAL__N_126atomicadaptivemaxgradinputIdEEvPT_PKS3_PKliiiiiil.kd
    .uniform_work_group_size: 1
    .uses_dynamic_stack: false
    .vgpr_count:     16
    .vgpr_spill_count: 0
    .wavefront_size: 32
  - .args:
      - .address_space:  global
        .offset:         0
        .size:           8
        .value_kind:     global_buffer
      - .address_space:  global
        .offset:         8
        .size:           8
        .value_kind:     global_buffer
      - .address_space:  global
        .offset:         16
        .size:           8
        .value_kind:     global_buffer
      - .offset:         24
        .size:           4
        .value_kind:     by_value
      - .offset:         28
        .size:           4
        .value_kind:     by_value
      - .offset:         32
        .size:           4
        .value_kind:     by_value
      - .offset:         36
        .size:           4
        .value_kind:     by_value
      - .offset:         40
        .size:           4
        .value_kind:     by_value
      - .offset:         44
        .size:           4
        .value_kind:     by_value
      - .offset:         48
        .size:           8
        .value_kind:     by_value
      - .offset:         56
        .size:           4
        .value_kind:     hidden_block_count_x
      - .offset:         60
        .size:           4
        .value_kind:     hidden_block_count_y
      - .offset:         64
        .size:           4
        .value_kind:     hidden_block_count_z
      - .offset:         68
        .size:           2
        .value_kind:     hidden_group_size_x
      - .offset:         70
        .size:           2
        .value_kind:     hidden_group_size_y
      - .offset:         72
        .size:           2
        .value_kind:     hidden_group_size_z
      - .offset:         74
        .size:           2
        .value_kind:     hidden_remainder_x
      - .offset:         76
        .size:           2
        .value_kind:     hidden_remainder_y
      - .offset:         78
        .size:           2
        .value_kind:     hidden_remainder_z
      - .offset:         96
        .size:           8
        .value_kind:     hidden_global_offset_x
      - .offset:         104
        .size:           8
        .value_kind:     hidden_global_offset_y
      - .offset:         112
        .size:           8
        .value_kind:     hidden_global_offset_z
      - .offset:         120
        .size:           2
        .value_kind:     hidden_grid_dims
    .group_segment_fixed_size: 0
    .kernarg_segment_align: 8
    .kernarg_segment_size: 312
    .language:       OpenCL C
    .language_version:
      - 2
      - 0
    .max_flat_workgroup_size: 1024
    .name:           _ZN2at6native12_GLOBAL__N_126atomicadaptivemaxgradinputIfEEvPT_PKS3_PKliiiiiil
    .private_segment_fixed_size: 0
    .sgpr_count:     34
    .sgpr_spill_count: 0
    .symbol:         _ZN2at6native12_GLOBAL__N_126atomicadaptivemaxgradinputIfEEvPT_PKS3_PKliiiiiil.kd
    .uniform_work_group_size: 1
    .uses_dynamic_stack: false
    .vgpr_count:     15
    .vgpr_spill_count: 0
    .wavefront_size: 32
  - .args:
      - .address_space:  global
        .offset:         0
        .size:           8
        .value_kind:     global_buffer
      - .address_space:  global
        .offset:         8
        .size:           8
        .value_kind:     global_buffer
      - .address_space:  global
        .offset:         16
        .size:           8
        .value_kind:     global_buffer
      - .offset:         24
        .size:           4
        .value_kind:     by_value
      - .offset:         28
        .size:           4
        .value_kind:     by_value
      - .offset:         32
        .size:           4
        .value_kind:     by_value
      - .offset:         36
        .size:           4
        .value_kind:     by_value
      - .offset:         40
        .size:           4
        .value_kind:     by_value
      - .offset:         44
        .size:           4
        .value_kind:     by_value
      - .offset:         48
        .size:           8
        .value_kind:     by_value
      - .offset:         56
        .size:           4
        .value_kind:     hidden_block_count_x
      - .offset:         60
        .size:           4
        .value_kind:     hidden_block_count_y
      - .offset:         64
        .size:           4
        .value_kind:     hidden_block_count_z
      - .offset:         68
        .size:           2
        .value_kind:     hidden_group_size_x
      - .offset:         70
        .size:           2
        .value_kind:     hidden_group_size_y
      - .offset:         72
        .size:           2
        .value_kind:     hidden_group_size_z
      - .offset:         74
        .size:           2
        .value_kind:     hidden_remainder_x
      - .offset:         76
        .size:           2
        .value_kind:     hidden_remainder_y
      - .offset:         78
        .size:           2
        .value_kind:     hidden_remainder_z
      - .offset:         96
        .size:           8
        .value_kind:     hidden_global_offset_x
      - .offset:         104
        .size:           8
        .value_kind:     hidden_global_offset_y
      - .offset:         112
        .size:           8
        .value_kind:     hidden_global_offset_z
      - .offset:         120
        .size:           2
        .value_kind:     hidden_grid_dims
    .group_segment_fixed_size: 0
    .kernarg_segment_align: 8
    .kernarg_segment_size: 312
    .language:       OpenCL C
    .language_version:
      - 2
      - 0
    .max_flat_workgroup_size: 1024
    .name:           _ZN2at6native12_GLOBAL__N_126atomicadaptivemaxgradinputIN3c104HalfEEEvPT_PKS5_PKliiiiiil
    .private_segment_fixed_size: 0
    .sgpr_count:     34
    .sgpr_spill_count: 0
    .symbol:         _ZN2at6native12_GLOBAL__N_126atomicadaptivemaxgradinputIN3c104HalfEEEvPT_PKS5_PKliiiiiil.kd
    .uniform_work_group_size: 1
    .uses_dynamic_stack: false
    .vgpr_count:     18
    .vgpr_spill_count: 0
    .wavefront_size: 32
  - .args:
      - .address_space:  global
        .offset:         0
        .size:           8
        .value_kind:     global_buffer
      - .address_space:  global
        .offset:         8
        .size:           8
        .value_kind:     global_buffer
      - .address_space:  global
        .offset:         16
        .size:           8
        .value_kind:     global_buffer
      - .offset:         24
        .size:           4
        .value_kind:     by_value
      - .offset:         28
        .size:           4
        .value_kind:     by_value
      - .offset:         32
        .size:           4
        .value_kind:     by_value
      - .offset:         36
        .size:           4
        .value_kind:     by_value
      - .offset:         40
        .size:           4
        .value_kind:     by_value
      - .offset:         44
        .size:           4
        .value_kind:     by_value
      - .offset:         48
        .size:           8
        .value_kind:     by_value
      - .offset:         56
        .size:           4
        .value_kind:     hidden_block_count_x
      - .offset:         60
        .size:           4
        .value_kind:     hidden_block_count_y
      - .offset:         64
        .size:           4
        .value_kind:     hidden_block_count_z
      - .offset:         68
        .size:           2
        .value_kind:     hidden_group_size_x
      - .offset:         70
        .size:           2
        .value_kind:     hidden_group_size_y
      - .offset:         72
        .size:           2
        .value_kind:     hidden_group_size_z
      - .offset:         74
        .size:           2
        .value_kind:     hidden_remainder_x
      - .offset:         76
        .size:           2
        .value_kind:     hidden_remainder_y
      - .offset:         78
        .size:           2
        .value_kind:     hidden_remainder_z
      - .offset:         96
        .size:           8
        .value_kind:     hidden_global_offset_x
      - .offset:         104
        .size:           8
        .value_kind:     hidden_global_offset_y
      - .offset:         112
        .size:           8
        .value_kind:     hidden_global_offset_z
      - .offset:         120
        .size:           2
        .value_kind:     hidden_grid_dims
    .group_segment_fixed_size: 0
    .kernarg_segment_align: 8
    .kernarg_segment_size: 312
    .language:       OpenCL C
    .language_version:
      - 2
      - 0
    .max_flat_workgroup_size: 1024
    .name:           _ZN2at6native12_GLOBAL__N_126atomicadaptivemaxgradinputIN3c108BFloat16EEEvPT_PKS5_PKliiiiiil
    .private_segment_fixed_size: 0
    .sgpr_count:     34
    .sgpr_spill_count: 0
    .symbol:         _ZN2at6native12_GLOBAL__N_126atomicadaptivemaxgradinputIN3c108BFloat16EEEvPT_PKS5_PKliiiiiil.kd
    .uniform_work_group_size: 1
    .uses_dynamic_stack: false
    .vgpr_count:     16
    .vgpr_spill_count: 0
    .wavefront_size: 32
  - .args:
      - .address_space:  global
        .offset:         0
        .size:           8
        .value_kind:     global_buffer
      - .address_space:  global
        .offset:         8
        .size:           8
        .value_kind:     global_buffer
      - .address_space:  global
        .offset:         16
        .size:           8
        .value_kind:     global_buffer
      - .offset:         24
        .size:           4
        .value_kind:     by_value
      - .offset:         28
        .size:           4
        .value_kind:     by_value
      - .offset:         32
        .size:           4
        .value_kind:     by_value
      - .offset:         36
        .size:           4
        .value_kind:     by_value
      - .offset:         40
        .size:           4
        .value_kind:     by_value
      - .offset:         44
        .size:           4
        .value_kind:     by_value
      - .offset:         48
        .size:           8
        .value_kind:     by_value
      - .offset:         56
        .size:           4
        .value_kind:     hidden_block_count_x
      - .offset:         60
        .size:           4
        .value_kind:     hidden_block_count_y
      - .offset:         64
        .size:           4
        .value_kind:     hidden_block_count_z
      - .offset:         68
        .size:           2
        .value_kind:     hidden_group_size_x
      - .offset:         70
        .size:           2
        .value_kind:     hidden_group_size_y
      - .offset:         72
        .size:           2
        .value_kind:     hidden_group_size_z
      - .offset:         74
        .size:           2
        .value_kind:     hidden_remainder_x
      - .offset:         76
        .size:           2
        .value_kind:     hidden_remainder_y
      - .offset:         78
        .size:           2
        .value_kind:     hidden_remainder_z
      - .offset:         96
        .size:           8
        .value_kind:     hidden_global_offset_x
      - .offset:         104
        .size:           8
        .value_kind:     hidden_global_offset_y
      - .offset:         112
        .size:           8
        .value_kind:     hidden_global_offset_z
      - .offset:         120
        .size:           2
        .value_kind:     hidden_grid_dims
    .group_segment_fixed_size: 0
    .kernarg_segment_align: 8
    .kernarg_segment_size: 312
    .language:       OpenCL C
    .language_version:
      - 2
      - 0
    .max_flat_workgroup_size: 1024
    .name:           _ZN2at6native12_GLOBAL__N_120adaptivemaxgradinputIdEEvPT_PKS3_PKliiiiiil
    .private_segment_fixed_size: 0
    .sgpr_count:     34
    .sgpr_spill_count: 0
    .symbol:         _ZN2at6native12_GLOBAL__N_120adaptivemaxgradinputIdEEvPT_PKS3_PKliiiiiil.kd
    .uniform_work_group_size: 1
    .uses_dynamic_stack: false
    .vgpr_count:     18
    .vgpr_spill_count: 0
    .wavefront_size: 32
  - .args:
      - .address_space:  global
        .offset:         0
        .size:           8
        .value_kind:     global_buffer
      - .address_space:  global
        .offset:         8
        .size:           8
        .value_kind:     global_buffer
      - .address_space:  global
        .offset:         16
        .size:           8
        .value_kind:     global_buffer
      - .offset:         24
        .size:           4
        .value_kind:     by_value
      - .offset:         28
        .size:           4
        .value_kind:     by_value
      - .offset:         32
        .size:           4
        .value_kind:     by_value
      - .offset:         36
        .size:           4
        .value_kind:     by_value
      - .offset:         40
        .size:           4
        .value_kind:     by_value
      - .offset:         44
        .size:           4
        .value_kind:     by_value
      - .offset:         48
        .size:           8
        .value_kind:     by_value
      - .offset:         56
        .size:           4
        .value_kind:     hidden_block_count_x
      - .offset:         60
        .size:           4
        .value_kind:     hidden_block_count_y
      - .offset:         64
        .size:           4
        .value_kind:     hidden_block_count_z
      - .offset:         68
        .size:           2
        .value_kind:     hidden_group_size_x
      - .offset:         70
        .size:           2
        .value_kind:     hidden_group_size_y
      - .offset:         72
        .size:           2
        .value_kind:     hidden_group_size_z
      - .offset:         74
        .size:           2
        .value_kind:     hidden_remainder_x
      - .offset:         76
        .size:           2
        .value_kind:     hidden_remainder_y
      - .offset:         78
        .size:           2
        .value_kind:     hidden_remainder_z
      - .offset:         96
        .size:           8
        .value_kind:     hidden_global_offset_x
      - .offset:         104
        .size:           8
        .value_kind:     hidden_global_offset_y
      - .offset:         112
        .size:           8
        .value_kind:     hidden_global_offset_z
      - .offset:         120
        .size:           2
        .value_kind:     hidden_grid_dims
    .group_segment_fixed_size: 0
    .kernarg_segment_align: 8
    .kernarg_segment_size: 312
    .language:       OpenCL C
    .language_version:
      - 2
      - 0
    .max_flat_workgroup_size: 1024
    .name:           _ZN2at6native12_GLOBAL__N_120adaptivemaxgradinputIfEEvPT_PKS3_PKliiiiiil
    .private_segment_fixed_size: 0
    .sgpr_count:     34
    .sgpr_spill_count: 0
    .symbol:         _ZN2at6native12_GLOBAL__N_120adaptivemaxgradinputIfEEvPT_PKS3_PKliiiiiil.kd
    .uniform_work_group_size: 1
    .uses_dynamic_stack: false
    .vgpr_count:     17
    .vgpr_spill_count: 0
    .wavefront_size: 32
  - .args:
      - .address_space:  global
        .offset:         0
        .size:           8
        .value_kind:     global_buffer
      - .address_space:  global
        .offset:         8
        .size:           8
        .value_kind:     global_buffer
      - .address_space:  global
        .offset:         16
        .size:           8
        .value_kind:     global_buffer
      - .offset:         24
        .size:           4
        .value_kind:     by_value
      - .offset:         28
        .size:           4
        .value_kind:     by_value
      - .offset:         32
        .size:           4
        .value_kind:     by_value
      - .offset:         36
        .size:           4
        .value_kind:     by_value
      - .offset:         40
        .size:           4
        .value_kind:     by_value
      - .offset:         44
        .size:           4
        .value_kind:     by_value
      - .offset:         48
        .size:           8
        .value_kind:     by_value
      - .offset:         56
        .size:           4
        .value_kind:     hidden_block_count_x
      - .offset:         60
        .size:           4
        .value_kind:     hidden_block_count_y
      - .offset:         64
        .size:           4
        .value_kind:     hidden_block_count_z
      - .offset:         68
        .size:           2
        .value_kind:     hidden_group_size_x
      - .offset:         70
        .size:           2
        .value_kind:     hidden_group_size_y
      - .offset:         72
        .size:           2
        .value_kind:     hidden_group_size_z
      - .offset:         74
        .size:           2
        .value_kind:     hidden_remainder_x
      - .offset:         76
        .size:           2
        .value_kind:     hidden_remainder_y
      - .offset:         78
        .size:           2
        .value_kind:     hidden_remainder_z
      - .offset:         96
        .size:           8
        .value_kind:     hidden_global_offset_x
      - .offset:         104
        .size:           8
        .value_kind:     hidden_global_offset_y
      - .offset:         112
        .size:           8
        .value_kind:     hidden_global_offset_z
      - .offset:         120
        .size:           2
        .value_kind:     hidden_grid_dims
    .group_segment_fixed_size: 0
    .kernarg_segment_align: 8
    .kernarg_segment_size: 312
    .language:       OpenCL C
    .language_version:
      - 2
      - 0
    .max_flat_workgroup_size: 1024
    .name:           _ZN2at6native12_GLOBAL__N_120adaptivemaxgradinputIN3c104HalfEEEvPT_PKS5_PKliiiiiil
    .private_segment_fixed_size: 0
    .sgpr_count:     34
    .sgpr_spill_count: 0
    .symbol:         _ZN2at6native12_GLOBAL__N_120adaptivemaxgradinputIN3c104HalfEEEvPT_PKS5_PKliiiiiil.kd
    .uniform_work_group_size: 1
    .uses_dynamic_stack: false
    .vgpr_count:     17
    .vgpr_spill_count: 0
    .wavefront_size: 32
  - .args:
      - .address_space:  global
        .offset:         0
        .size:           8
        .value_kind:     global_buffer
      - .address_space:  global
        .offset:         8
        .size:           8
        .value_kind:     global_buffer
      - .address_space:  global
        .offset:         16
        .size:           8
        .value_kind:     global_buffer
      - .offset:         24
        .size:           4
        .value_kind:     by_value
      - .offset:         28
        .size:           4
        .value_kind:     by_value
      - .offset:         32
        .size:           4
        .value_kind:     by_value
      - .offset:         36
        .size:           4
        .value_kind:     by_value
      - .offset:         40
        .size:           4
        .value_kind:     by_value
      - .offset:         44
        .size:           4
        .value_kind:     by_value
      - .offset:         48
        .size:           8
        .value_kind:     by_value
      - .offset:         56
        .size:           4
        .value_kind:     hidden_block_count_x
      - .offset:         60
        .size:           4
        .value_kind:     hidden_block_count_y
      - .offset:         64
        .size:           4
        .value_kind:     hidden_block_count_z
      - .offset:         68
        .size:           2
        .value_kind:     hidden_group_size_x
      - .offset:         70
        .size:           2
        .value_kind:     hidden_group_size_y
      - .offset:         72
        .size:           2
        .value_kind:     hidden_group_size_z
      - .offset:         74
        .size:           2
        .value_kind:     hidden_remainder_x
      - .offset:         76
        .size:           2
        .value_kind:     hidden_remainder_y
      - .offset:         78
        .size:           2
        .value_kind:     hidden_remainder_z
      - .offset:         96
        .size:           8
        .value_kind:     hidden_global_offset_x
      - .offset:         104
        .size:           8
        .value_kind:     hidden_global_offset_y
      - .offset:         112
        .size:           8
        .value_kind:     hidden_global_offset_z
      - .offset:         120
        .size:           2
        .value_kind:     hidden_grid_dims
    .group_segment_fixed_size: 0
    .kernarg_segment_align: 8
    .kernarg_segment_size: 312
    .language:       OpenCL C
    .language_version:
      - 2
      - 0
    .max_flat_workgroup_size: 1024
    .name:           _ZN2at6native12_GLOBAL__N_120adaptivemaxgradinputIN3c108BFloat16EEEvPT_PKS5_PKliiiiiil
    .private_segment_fixed_size: 0
    .sgpr_count:     34
    .sgpr_spill_count: 0
    .symbol:         _ZN2at6native12_GLOBAL__N_120adaptivemaxgradinputIN3c108BFloat16EEEvPT_PKS5_PKliiiiiil.kd
    .uniform_work_group_size: 1
    .uses_dynamic_stack: false
    .vgpr_count:     17
    .vgpr_spill_count: 0
    .wavefront_size: 32
amdhsa.target:   amdgcn-amd-amdhsa--gfx1250
amdhsa.version:
  - 1
  - 2
...

	.end_amdgpu_metadata
